;; amdgpu-corpus repo=ROCm/rocFFT kind=compiled arch=gfx950 opt=O3
	.text
	.amdgcn_target "amdgcn-amd-amdhsa--gfx950"
	.amdhsa_code_object_version 6
	.protected	fft_rtc_fwd_len935_factors_17_11_5_wgs_255_tpt_85_halfLds_half_ip_CI_sbrr_dirReg ; -- Begin function fft_rtc_fwd_len935_factors_17_11_5_wgs_255_tpt_85_halfLds_half_ip_CI_sbrr_dirReg
	.globl	fft_rtc_fwd_len935_factors_17_11_5_wgs_255_tpt_85_halfLds_half_ip_CI_sbrr_dirReg
	.p2align	8
	.type	fft_rtc_fwd_len935_factors_17_11_5_wgs_255_tpt_85_halfLds_half_ip_CI_sbrr_dirReg,@function
fft_rtc_fwd_len935_factors_17_11_5_wgs_255_tpt_85_halfLds_half_ip_CI_sbrr_dirReg: ; @fft_rtc_fwd_len935_factors_17_11_5_wgs_255_tpt_85_halfLds_half_ip_CI_sbrr_dirReg
; %bb.0:
	s_load_dwordx2 s[12:13], s[0:1], 0x18
	s_load_dwordx4 s[4:7], s[0:1], 0x0
	s_load_dwordx2 s[10:11], s[0:1], 0x50
	v_mul_u32_u24_e32 v1, 0x304, v0
	v_lshrrev_b32_e32 v2, 16, v1
	s_waitcnt lgkmcnt(0)
	s_load_dwordx2 s[8:9], s[12:13], 0x0
	v_mad_u64_u32 v[2:3], s[2:3], s2, 3, v[2:3]
	v_mov_b32_e32 v6, 0
	v_mov_b32_e32 v3, v6
	v_cmp_lt_u64_e64 s[2:3], s[6:7], 2
	s_and_b64 vcc, exec, s[2:3]
	v_mov_b64_e32 v[4:5], 0
	v_mov_b64_e32 v[10:11], v[2:3]
	s_cbranch_vccnz .LBB0_8
; %bb.1:
	s_load_dwordx2 s[2:3], s[0:1], 0x10
	s_add_u32 s14, s12, 8
	s_addc_u32 s15, s13, 0
	s_mov_b64 s[16:17], 1
	v_mov_b64_e32 v[4:5], 0
	s_waitcnt lgkmcnt(0)
	s_add_u32 s18, s2, 8
	s_addc_u32 s19, s3, 0
	v_mov_b64_e32 v[8:9], v[2:3]
.LBB0_2:                                ; =>This Inner Loop Header: Depth=1
	s_load_dwordx2 s[20:21], s[18:19], 0x0
                                        ; implicit-def: $vgpr10_vgpr11
	s_waitcnt lgkmcnt(0)
	v_or_b32_e32 v7, s21, v9
	v_cmp_ne_u64_e32 vcc, 0, v[6:7]
	s_and_saveexec_b64 s[2:3], vcc
	s_xor_b64 s[22:23], exec, s[2:3]
	s_cbranch_execz .LBB0_4
; %bb.3:                                ;   in Loop: Header=BB0_2 Depth=1
	v_cvt_f32_u32_e32 v1, s20
	v_cvt_f32_u32_e32 v3, s21
	s_sub_u32 s2, 0, s20
	s_subb_u32 s3, 0, s21
	v_fmac_f32_e32 v1, 0x4f800000, v3
	v_rcp_f32_e32 v1, v1
	s_nop 0
	v_mul_f32_e32 v1, 0x5f7ffffc, v1
	v_mul_f32_e32 v3, 0x2f800000, v1
	v_trunc_f32_e32 v3, v3
	v_fmac_f32_e32 v1, 0xcf800000, v3
	v_cvt_u32_f32_e32 v3, v3
	v_cvt_u32_f32_e32 v1, v1
	v_mul_lo_u32 v7, s2, v3
	v_mul_hi_u32 v10, s2, v1
	v_mul_lo_u32 v11, s3, v1
	v_add_u32_e32 v7, v10, v7
	v_mul_lo_u32 v14, s2, v1
	v_add_u32_e32 v7, v7, v11
	v_mul_hi_u32 v10, v1, v14
	v_mul_hi_u32 v13, v1, v7
	v_mul_lo_u32 v12, v1, v7
	v_mov_b32_e32 v11, v6
	v_lshl_add_u64 v[10:11], v[10:11], 0, v[12:13]
	v_mul_hi_u32 v13, v3, v14
	v_mul_lo_u32 v14, v3, v14
	v_add_co_u32_e32 v10, vcc, v10, v14
	v_mul_hi_u32 v12, v3, v7
	s_nop 0
	v_addc_co_u32_e32 v10, vcc, v11, v13, vcc
	v_mov_b32_e32 v11, v6
	s_nop 0
	v_addc_co_u32_e32 v13, vcc, 0, v12, vcc
	v_mul_lo_u32 v12, v3, v7
	v_lshl_add_u64 v[10:11], v[10:11], 0, v[12:13]
	v_add_co_u32_e32 v1, vcc, v1, v10
	v_mul_hi_u32 v10, s2, v1
	s_nop 0
	v_addc_co_u32_e32 v3, vcc, v3, v11, vcc
	v_mul_lo_u32 v7, s2, v3
	v_add_u32_e32 v7, v10, v7
	v_mul_lo_u32 v10, s3, v1
	v_add_u32_e32 v7, v7, v10
	v_mul_lo_u32 v12, s2, v1
	v_mul_hi_u32 v15, v3, v12
	v_mul_lo_u32 v16, v3, v12
	v_mul_hi_u32 v11, v1, v7
	;; [unrolled: 2-line block ×3, first 2 shown]
	v_mov_b32_e32 v13, v6
	v_lshl_add_u64 v[10:11], v[12:13], 0, v[10:11]
	v_add_co_u32_e32 v10, vcc, v10, v16
	v_mul_hi_u32 v14, v3, v7
	s_nop 0
	v_addc_co_u32_e32 v10, vcc, v11, v15, vcc
	v_mul_lo_u32 v12, v3, v7
	s_nop 0
	v_addc_co_u32_e32 v13, vcc, 0, v14, vcc
	v_mov_b32_e32 v11, v6
	v_lshl_add_u64 v[10:11], v[10:11], 0, v[12:13]
	v_add_co_u32_e32 v1, vcc, v1, v10
	v_mul_hi_u32 v12, v8, v1
	s_nop 0
	v_addc_co_u32_e32 v3, vcc, v3, v11, vcc
	v_mad_u64_u32 v[10:11], s[2:3], v8, v3, 0
	v_mov_b32_e32 v13, v6
	v_lshl_add_u64 v[10:11], v[12:13], 0, v[10:11]
	v_mad_u64_u32 v[14:15], s[2:3], v9, v1, 0
	v_add_co_u32_e32 v1, vcc, v10, v14
	v_mad_u64_u32 v[12:13], s[2:3], v9, v3, 0
	s_nop 0
	v_addc_co_u32_e32 v10, vcc, v11, v15, vcc
	v_mov_b32_e32 v11, v6
	s_nop 0
	v_addc_co_u32_e32 v13, vcc, 0, v13, vcc
	v_lshl_add_u64 v[10:11], v[10:11], 0, v[12:13]
	v_mul_lo_u32 v1, s21, v10
	v_mul_lo_u32 v3, s20, v11
	v_mad_u64_u32 v[12:13], s[2:3], s20, v10, 0
	v_add3_u32 v1, v13, v3, v1
	v_sub_u32_e32 v3, v9, v1
	v_mov_b32_e32 v7, s21
	v_sub_co_u32_e32 v16, vcc, v8, v12
	v_lshl_add_u64 v[14:15], v[10:11], 0, 1
	s_nop 0
	v_subb_co_u32_e64 v3, s[2:3], v3, v7, vcc
	v_subrev_co_u32_e64 v7, s[2:3], s20, v16
	v_subb_co_u32_e32 v1, vcc, v9, v1, vcc
	s_nop 0
	v_subbrev_co_u32_e64 v3, s[2:3], 0, v3, s[2:3]
	v_cmp_le_u32_e64 s[2:3], s21, v3
	v_cmp_le_u32_e32 vcc, s21, v1
	s_nop 0
	v_cndmask_b32_e64 v12, 0, -1, s[2:3]
	v_cmp_le_u32_e64 s[2:3], s20, v7
	s_nop 1
	v_cndmask_b32_e64 v7, 0, -1, s[2:3]
	v_cmp_eq_u32_e64 s[2:3], s21, v3
	s_nop 1
	v_cndmask_b32_e64 v3, v12, v7, s[2:3]
	v_lshl_add_u64 v[12:13], v[10:11], 0, 2
	v_cmp_ne_u32_e64 s[2:3], 0, v3
	v_cndmask_b32_e64 v7, 0, -1, vcc
	v_cmp_le_u32_e32 vcc, s20, v16
	v_cndmask_b32_e64 v3, v15, v13, s[2:3]
	s_nop 0
	v_cndmask_b32_e64 v13, 0, -1, vcc
	v_cmp_eq_u32_e32 vcc, s21, v1
	s_nop 1
	v_cndmask_b32_e32 v1, v7, v13, vcc
	v_cmp_ne_u32_e32 vcc, 0, v1
	v_cndmask_b32_e64 v1, v14, v12, s[2:3]
	s_nop 0
	v_cndmask_b32_e32 v11, v11, v3, vcc
	v_cndmask_b32_e32 v10, v10, v1, vcc
.LBB0_4:                                ;   in Loop: Header=BB0_2 Depth=1
	s_andn2_saveexec_b64 s[2:3], s[22:23]
	s_cbranch_execz .LBB0_6
; %bb.5:                                ;   in Loop: Header=BB0_2 Depth=1
	v_cvt_f32_u32_e32 v1, s20
	s_sub_i32 s22, 0, s20
	v_mov_b32_e32 v11, v6
	v_rcp_iflag_f32_e32 v1, v1
	s_nop 0
	v_mul_f32_e32 v1, 0x4f7ffffe, v1
	v_cvt_u32_f32_e32 v1, v1
	v_mul_lo_u32 v3, s22, v1
	v_mul_hi_u32 v3, v1, v3
	v_add_u32_e32 v1, v1, v3
	v_mul_hi_u32 v1, v8, v1
	v_mul_lo_u32 v3, v1, s20
	v_sub_u32_e32 v3, v8, v3
	v_add_u32_e32 v7, 1, v1
	v_subrev_u32_e32 v10, s20, v3
	v_cmp_le_u32_e32 vcc, s20, v3
	s_nop 1
	v_cndmask_b32_e32 v3, v3, v10, vcc
	v_cndmask_b32_e32 v1, v1, v7, vcc
	v_add_u32_e32 v7, 1, v1
	v_cmp_le_u32_e32 vcc, s20, v3
	s_nop 1
	v_cndmask_b32_e32 v10, v1, v7, vcc
.LBB0_6:                                ;   in Loop: Header=BB0_2 Depth=1
	s_or_b64 exec, exec, s[2:3]
	v_mad_u64_u32 v[12:13], s[2:3], v10, s20, 0
	s_load_dwordx2 s[2:3], s[14:15], 0x0
	s_add_u32 s16, s16, 1
	v_mul_lo_u32 v1, v11, s20
	v_mul_lo_u32 v3, v10, s21
	s_addc_u32 s17, s17, 0
	v_add3_u32 v1, v13, v3, v1
	v_sub_co_u32_e32 v3, vcc, v8, v12
	s_add_u32 s14, s14, 8
	s_nop 0
	v_subb_co_u32_e32 v1, vcc, v9, v1, vcc
	s_addc_u32 s15, s15, 0
	v_mov_b64_e32 v[8:9], s[6:7]
	s_waitcnt lgkmcnt(0)
	v_mul_lo_u32 v1, s2, v1
	v_mul_lo_u32 v7, s3, v3
	v_mad_u64_u32 v[4:5], s[2:3], s2, v3, v[4:5]
	s_add_u32 s18, s18, 8
	v_cmp_ge_u64_e32 vcc, s[16:17], v[8:9]
	v_add3_u32 v5, v7, v5, v1
	s_addc_u32 s19, s19, 0
	s_cbranch_vccnz .LBB0_8
; %bb.7:                                ;   in Loop: Header=BB0_2 Depth=1
	v_mov_b64_e32 v[8:9], v[10:11]
	s_branch .LBB0_2
.LBB0_8:
	s_lshl_b64 s[2:3], s[6:7], 3
	s_add_u32 s2, s12, s2
	s_addc_u32 s3, s13, s3
	s_load_dwordx2 s[6:7], s[2:3], 0x0
	s_load_dwordx2 s[12:13], s[0:1], 0x20
                                        ; implicit-def: $vgpr13
                                        ; implicit-def: $vgpr16
                                        ; implicit-def: $vgpr18
                                        ; implicit-def: $vgpr19
                                        ; implicit-def: $vgpr20
                                        ; implicit-def: $vgpr14
                                        ; implicit-def: $vgpr21
                                        ; implicit-def: $vgpr15
                                        ; implicit-def: $vgpr22
                                        ; implicit-def: $vgpr17
                                        ; implicit-def: $vgpr23
                                        ; implicit-def: $vgpr32
                                        ; implicit-def: $vgpr24
                                        ; implicit-def: $vgpr40
                                        ; implicit-def: $vgpr25
                                        ; implicit-def: $vgpr39
                                        ; implicit-def: $vgpr26
                                        ; implicit-def: $vgpr38
                                        ; implicit-def: $vgpr27
                                        ; implicit-def: $vgpr37
                                        ; implicit-def: $vgpr28
                                        ; implicit-def: $vgpr36
                                        ; implicit-def: $vgpr29
                                        ; implicit-def: $vgpr35
                                        ; implicit-def: $vgpr30
                                        ; implicit-def: $vgpr34
                                        ; implicit-def: $vgpr31
                                        ; implicit-def: $vgpr33
	s_waitcnt lgkmcnt(0)
	v_mad_u64_u32 v[6:7], s[0:1], s6, v10, v[4:5]
	v_mul_lo_u32 v1, s6, v11
	v_mul_lo_u32 v3, s7, v10
	s_mov_b32 s0, 0x3030304
	v_add3_u32 v7, v3, v7, v1
	v_mul_hi_u32 v1, v0, s0
	v_mul_u32_u24_e32 v1, 0x55, v1
	v_sub_u32_e32 v12, v0, v1
	v_cmp_gt_u64_e32 vcc, s[12:13], v[10:11]
	v_cmp_gt_u32_e64 s[0:1], 55, v12
	s_and_b64 s[6:7], vcc, s[0:1]
	v_mov_b32_e32 v4, 0
	v_lshl_add_u64 v[8:9], v[6:7], 2, s[10:11]
	v_mov_b32_e32 v0, 0
                                        ; implicit-def: $vgpr5
                                        ; implicit-def: $vgpr6
                                        ; implicit-def: $vgpr7
                                        ; implicit-def: $vgpr11
	s_and_saveexec_b64 s[2:3], s[6:7]
	s_cbranch_execz .LBB0_10
; %bb.9:
	v_mad_u64_u32 v[0:1], s[6:7], s8, v12, 0
	v_mov_b32_e32 v4, v1
	v_mad_u64_u32 v[4:5], s[6:7], s9, v12, v[4:5]
	v_mov_b32_e32 v1, v4
	v_add_u32_e32 v3, 55, v12
	v_lshl_add_u64 v[18:19], v[0:1], 2, v[8:9]
	v_mad_u64_u32 v[0:1], s[6:7], s8, v3, 0
	v_mov_b32_e32 v4, v1
	v_mad_u64_u32 v[4:5], s[6:7], s9, v3, v[4:5]
	v_mov_b32_e32 v1, v4
	v_add_u32_e32 v3, 0x6e, v12
	v_lshl_add_u64 v[20:21], v[0:1], 2, v[8:9]
	v_mad_u64_u32 v[0:1], s[6:7], s8, v3, 0
	v_mov_b32_e32 v4, v1
	v_mad_u64_u32 v[4:5], s[6:7], s9, v3, v[4:5]
	v_mov_b32_e32 v1, v4
	v_add_u32_e32 v3, 0xa5, v12
	v_lshl_add_u64 v[22:23], v[0:1], 2, v[8:9]
	v_mad_u64_u32 v[0:1], s[6:7], s8, v3, 0
	v_mov_b32_e32 v4, v1
	v_mad_u64_u32 v[4:5], s[6:7], s9, v3, v[4:5]
	v_mov_b32_e32 v1, v4
	v_add_u32_e32 v3, 0xdc, v12
	v_lshl_add_u64 v[24:25], v[0:1], 2, v[8:9]
	v_mad_u64_u32 v[0:1], s[6:7], s8, v3, 0
	v_mov_b32_e32 v4, v1
	v_mad_u64_u32 v[4:5], s[6:7], s9, v3, v[4:5]
	v_mov_b32_e32 v1, v4
	v_add_u32_e32 v3, 0x113, v12
	v_lshl_add_u64 v[26:27], v[0:1], 2, v[8:9]
	v_mad_u64_u32 v[0:1], s[6:7], s8, v3, 0
	v_mov_b32_e32 v4, v1
	v_mad_u64_u32 v[4:5], s[6:7], s9, v3, v[4:5]
	v_mov_b32_e32 v1, v4
	v_add_u32_e32 v3, 0x14a, v12
	v_lshl_add_u64 v[28:29], v[0:1], 2, v[8:9]
	v_mad_u64_u32 v[0:1], s[6:7], s8, v3, 0
	v_mov_b32_e32 v4, v1
	v_mad_u64_u32 v[4:5], s[6:7], s9, v3, v[4:5]
	v_mov_b32_e32 v1, v4
	v_add_u32_e32 v3, 0x181, v12
	v_lshl_add_u64 v[30:31], v[0:1], 2, v[8:9]
	v_mad_u64_u32 v[0:1], s[6:7], s8, v3, 0
	v_mov_b32_e32 v4, v1
	v_mad_u64_u32 v[4:5], s[6:7], s9, v3, v[4:5]
	v_mov_b32_e32 v1, v4
	v_lshl_add_u64 v[32:33], v[0:1], 2, v[8:9]
	global_load_dword v0, v[18:19], off
	global_load_dword v5, v[20:21], off
	;; [unrolled: 1-line block ×8, first 2 shown]
	v_add_u32_e32 v1, 0x1b8, v12
	v_mad_u64_u32 v[18:19], s[6:7], s8, v1, 0
	v_mov_b32_e32 v4, v19
	s_waitcnt vmcnt(6)
	v_mad_u64_u32 v[20:21], s[6:7], s9, v1, v[4:5]
	v_add_u32_e32 v1, 0x1ef, v12
	v_mov_b32_e32 v19, v20
	v_mad_u64_u32 v[20:21], s[6:7], s8, v1, 0
	v_mov_b32_e32 v4, v21
	v_mad_u64_u32 v[22:23], s[6:7], s9, v1, v[4:5]
	v_add_u32_e32 v1, 0x226, v12
	v_mov_b32_e32 v21, v22
	v_mad_u64_u32 v[22:23], s[6:7], s8, v1, 0
	v_mov_b32_e32 v4, v23
	;; [unrolled: 5-line block ×7, first 2 shown]
	v_mad_u64_u32 v[34:35], s[6:7], s9, v1, v[4:5]
	v_lshl_add_u64 v[18:19], v[18:19], 2, v[8:9]
	v_mov_b32_e32 v33, v34
	v_add_u32_e32 v1, 0x370, v12
	v_lshl_add_u64 v[20:21], v[20:21], 2, v[8:9]
	v_lshl_add_u64 v[22:23], v[22:23], 2, v[8:9]
	;; [unrolled: 1-line block ×7, first 2 shown]
	global_load_dword v32, v[18:19], off
	global_load_dword v33, v[20:21], off
	;; [unrolled: 1-line block ×8, first 2 shown]
	v_mad_u64_u32 v[18:19], s[6:7], s8, v1, 0
	v_mov_b32_e32 v4, v19
	v_mad_u64_u32 v[20:21], s[6:7], s9, v1, v[4:5]
	v_mov_b32_e32 v19, v20
	v_lshl_add_u64 v[18:19], v[18:19], 2, v[8:9]
	global_load_dword v40, v[18:19], off
	v_lshrrev_b32_e32 v4, 16, v0
	v_lshrrev_b32_e32 v13, 16, v5
	s_waitcnt vmcnt(14)
	v_lshrrev_b32_e32 v16, 16, v6
	s_waitcnt vmcnt(13)
	;; [unrolled: 2-line block ×15, first 2 shown]
	v_lshrrev_b32_e32 v24, 16, v40
.LBB0_10:
	s_or_b64 exec, exec, s[2:3]
	s_mov_b32 s2, 0xaaaaaaab
	v_mul_hi_u32 v1, v2, s2
	v_lshrrev_b32_e32 v1, 1, v1
	v_add_f16_e32 v71, v5, v40
	s_mov_b32 s6, 0x37222de8
	v_lshl_add_u32 v1, v1, 1, v1
	v_sub_f16_e32 v3, v13, v24
	v_add_f16_e32 v70, v6, v39
	v_pk_mul_f16 v63, v71, s6 op_sel_hi:[0,1]
	s_mov_b32 s24, 0xbb29bbf7
	s_mov_b32 s7, 0xb8d2bbdd
	v_sub_u32_e32 v10, v2, v1
	v_sub_f16_e32 v41, v16, v25
	v_add_f16_e32 v69, v7, v38
	v_pk_fma_f16 v1, v3, s24, v63 op_sel_hi:[0,1,1]
	v_pk_mul_f16 v62, v70, s7 op_sel_hi:[0,1]
	s_mov_b32 s25, 0xba62b1e1
	s_mov_b32 s10, 0xbbddb461
	v_sub_f16_e32 v42, v18, v26
	v_add_f16_e32 v68, v11, v37
	v_pk_add_f16 v1, v0, v1 op_sel_hi:[0,1]
	v_pk_fma_f16 v2, v41, s25, v62 op_sel_hi:[0,1,1]
	v_pk_mul_f16 v60, v69, s10 op_sel_hi:[0,1]
	s_mov_b32 s26, 0x31e13bb2
	s_mov_b32 s11, 0xb4613b76
	v_sub_f16_e32 v43, v19, v27
	v_add_f16_e32 v67, v14, v36
	v_pk_add_f16 v1, v1, v2
	v_pk_fma_f16 v2, v42, s26, v60 op_sel_hi:[0,1,1]
	v_pk_mul_f16 v59, v68, s11 op_sel_hi:[0,1]
	s_mov_b32 s27, 0x3bb235c8
	s_mov_b32 s12, 0x39e93722
	v_sub_f16_e32 v44, v20, v28
	v_add_f16_e32 v66, v15, v35
	v_pk_add_f16 v1, v1, v2
	;; [unrolled: 7-line block ×3, first 2 shown]
	v_pk_fma_f16 v2, v44, s28, v58 op_sel_hi:[0,1,1]
	v_pk_mul_f16 v56, v66, s13 op_sel_hi:[0,1]
	s_mov_b32 s29, 0xb5c8b836
	s_mov_b32 s14, 0x2de8b8d2
	v_sub_f16_e32 v46, v22, v30
	v_pk_add_f16 v1, v1, v2
	v_pk_fma_f16 v2, v45, s29, v56 op_sel_hi:[0,1,1]
	v_pk_mul_f16 v55, v65, s14 op_sel_hi:[0,1]
	s_mov_b32 s31, 0xbbf73a62
	s_mov_b32 s15, 0xb461b8d2
	v_pk_add_f16 v1, v1, v2
	v_pk_fma_f16 v2, v46, s31, v55 op_sel_hi:[0,1,1]
	v_pk_mul_f16 v54, v71, s15 op_sel_hi:[0,1]
	s_mov_b32 s33, 0xbbb2ba62
	s_mov_b32 s16, 0xbacdb461
	;; [unrolled: 5-line block ×3, first 2 shown]
	v_pk_add_f16 v2, v0, v2 op_sel_hi:[0,1]
	v_pk_fma_f16 v47, v41, s34, v53 op_sel_hi:[0,1,1]
	v_pk_mul_f16 v51, v69, s17 op_sel_hi:[0,1]
	s_mov_b32 s35, 0x3964b5c8
	v_pk_add_f16 v2, v2, v47
	v_pk_fma_f16 v47, v42, s35, v51 op_sel_hi:[0,1,1]
	s_mov_b32 s18, 0x3722bacd
	v_pk_add_f16 v2, v2, v47
	s_mov_b32 s36, 0xbb29b836
	v_pk_mul_f16 v47, v68, s18 op_sel_hi:[0,1]
	v_pk_fma_f16 v48, v43, s36, v47 op_sel_hi:[0,1,1]
	s_mov_b32 s19, 0xbbdd2de8
	v_pk_add_f16 v2, v2, v48
	s_mov_b32 s37, 0xb1e13bf7
	v_pk_mul_f16 v48, v67, s19 op_sel_hi:[0,1]
	;; [unrolled: 5-line block ×4, first 2 shown]
	v_pk_fma_f16 v52, v46, s39, v50 op_sel_hi:[0,1,1]
	s_mov_b32 s23, 0xbacd39e9
	s_mov_b32 s22, 0xb8d23722
	v_add_f16_e32 v64, v32, v33
	v_pk_add_f16 v72, v2, v52
	s_mov_b32 s41, 0xb8363964
	s_mov_b32 s40, 0xba623b29
	v_sub_f16_e32 v57, v23, v31
	v_pk_mul_f16 v61, v64, s23 op_sel_hi:[0,1]
	v_pk_mul_f16 v52, v64, s22 op_sel_hi:[0,1]
	v_pk_fma_f16 v2, v57, s41, v61 op_sel_hi:[0,1,1]
	v_pk_fma_f16 v73, v57, s40, v52 op_sel_hi:[0,1,1]
	v_mul_u32_u24_e32 v10, 0x3a7, v10
	v_pk_add_f16 v2, v1, v2
	v_pk_add_f16 v1, v72, v73
	s_mov_b32 s30, 0x5040100
	v_lshlrev_b32_e32 v10, 1, v10
	s_and_saveexec_b64 s[2:3], s[0:1]
	s_cbranch_execz .LBB0_12
; %bb.11:
	v_pack_b32_f16 v71, v71, v71
	v_pk_mul_f16 v73, v3, s24 op_sel_hi:[0,1]
	s_mov_b32 s42, 0x3b7639e9
	v_pack_b32_f16 v72, v3, v3
	v_pack_b32_f16 v70, v70, v70
	v_pk_mul_f16 v75, v41, s25 op_sel_hi:[0,1]
	v_pk_mul_f16 v84, v71, s42
	s_mov_b32 s42, 0xb5c8b964
	v_pk_add_f16 v63, v63, v73 op_sel:[1,1] op_sel_hi:[0,0] neg_lo:[0,1] neg_hi:[0,1]
	s_mov_b32 s43, 0x39e92de8
	v_pack_b32_f16 v74, v41, v41
	v_pack_b32_f16 v69, v69, v69
	v_pk_mul_f16 v77, v42, s26 op_sel_hi:[0,1]
	v_pk_mul_f16 v73, v72, s42
	v_pk_mul_f16 v85, v70, s43
	s_mov_b32 s43, 0xb964bbf7
	v_pk_add_f16 v62, v62, v75 op_sel:[1,1] op_sel_hi:[0,0] neg_lo:[0,1] neg_hi:[0,1]
	v_pk_add_f16 v63, v0, v63 op_sel_hi:[0,1]
	s_mov_b32 s44, 0x3722b8d2
	v_pack_b32_f16 v76, v42, v42
	v_pack_b32_f16 v68, v68, v68
	v_pk_mul_f16 v75, v74, s43
	v_pk_add_f16 v73, v84, v73 op_sel:[1,1] op_sel_hi:[0,0] neg_lo:[0,1] neg_hi:[0,1]
	v_pk_add_f16 v62, v63, v62
	v_pk_mul_f16 v63, v69, s44
	s_mov_b32 s44, 0xbb29ba62
	v_pk_add_f16 v60, v60, v77 op_sel:[1,1] op_sel_hi:[0,0] neg_lo:[0,1] neg_hi:[0,1]
	s_mov_b32 s45, 0x2de8bbdd
	v_pack_b32_f16 v78, v43, v43
	v_pk_mul_f16 v79, v43, s27 op_sel_hi:[0,1]
	v_pack_b32_f16 v67, v67, v67
	v_pk_add_f16 v73, v0, v73 op_sel_hi:[0,1]
	v_pk_add_f16 v75, v85, v75 op_sel:[1,1] op_sel_hi:[0,0] neg_lo:[0,1] neg_hi:[0,1]
	v_pk_mul_f16 v77, v76, s44
	v_pk_add_f16 v60, v62, v60
	v_pk_mul_f16 v62, v68, s45
	s_mov_b32 s45, 0xbbf7b1e1
	s_mov_b32 s46, 0xb461bacd
	v_pack_b32_f16 v80, v44, v44
	v_pk_mul_f16 v81, v44, s28 op_sel_hi:[0,1]
	v_pack_b32_f16 v66, v66, v66
	v_pk_add_f16 v73, v73, v75
	v_pk_add_f16 v77, v63, v77 op_sel:[1,1] op_sel_hi:[0,0] neg_lo:[0,1] neg_hi:[0,1]
	v_pk_add_f16 v59, v59, v79 op_sel:[1,1] op_sel_hi:[0,0] neg_lo:[0,1] neg_hi:[0,1]
	v_pk_mul_f16 v79, v78, s45
	v_pk_mul_f16 v86, v67, s46
	s_mov_b32 s46, 0xbbb23836
	s_mov_b32 s47, 0xb8d2b461
	v_pack_b32_f16 v82, v45, v45
	v_pk_mul_f16 v83, v45, s29 op_sel_hi:[0,1]
	v_pack_b32_f16 v65, v65, v65
	v_pk_add_f16 v73, v73, v77
	v_pk_add_f16 v79, v62, v79 op_sel:[1,1] op_sel_hi:[0,0] neg_lo:[0,1] neg_hi:[0,1]
	v_pk_add_f16 v59, v60, v59
	v_pk_add_f16 v58, v58, v81 op_sel:[1,1] op_sel_hi:[0,0] neg_lo:[0,1] neg_hi:[0,1]
	v_pk_mul_f16 v60, v80, s46
	v_pk_mul_f16 v81, v66, s47
	s_mov_b32 s47, 0xba623bb2
	s_mov_b32 s48, 0xbacd3722
	v_pack_b32_f16 v75, v46, v46
	v_pk_add_f16 v73, v73, v79
	v_pk_add_f16 v60, v86, v60 op_sel:[1,1] op_sel_hi:[0,0] neg_lo:[0,1] neg_hi:[0,1]
	v_pk_add_f16 v58, v59, v58
	v_pk_add_f16 v56, v56, v83 op_sel:[1,1] op_sel_hi:[0,0] neg_lo:[0,1] neg_hi:[0,1]
	v_pk_mul_f16 v59, v82, s47
	v_pk_mul_f16 v83, v65, s48
	s_mov_b32 s48, 0xb8363b29
	v_pk_mul_f16 v77, v46, s31 op_sel_hi:[0,1]
	v_pack_b32_f16 v64, v64, v64
	v_pk_add_f16 v60, v73, v60
	v_pk_add_f16 v59, v81, v59 op_sel:[1,1] op_sel_hi:[0,0] neg_lo:[0,1] neg_hi:[0,1]
	v_pk_add_f16 v56, v58, v56
	v_pk_mul_f16 v58, v75, s48
	s_mov_b32 s49, 0xbbdd3b76
	v_pack_b32_f16 v79, v57, v57
	v_pk_add_f16 v59, v60, v59
	v_pk_add_f16 v55, v55, v77 op_sel:[1,1] op_sel_hi:[0,0] neg_lo:[0,1] neg_hi:[0,1]
	v_pk_mul_f16 v77, v64, s49
	s_mov_b32 s49, 0xb1e135c8
	v_pk_add_f16 v58, v83, v58 op_sel:[1,1] op_sel_hi:[0,0] neg_lo:[0,1] neg_hi:[0,1]
	v_pk_mul_f16 v73, v57, s41 op_sel_hi:[0,1]
	v_pk_add_f16 v58, v59, v58
	v_pk_mul_f16 v59, v79, s49
	v_pk_add_f16 v55, v56, v55
	v_pk_add_f16 v56, v77, v59 op_sel:[1,1] op_sel_hi:[0,0] neg_lo:[0,1] neg_hi:[0,1]
	v_pk_add_f16 v59, v61, v73 op_sel:[1,1] op_sel_hi:[0,0] neg_lo:[0,1] neg_hi:[0,1]
	v_pk_add_f16 v59, v55, v59
	v_add_f16_e32 v55, v0, v5
	v_add_f16_e32 v55, v55, v6
	;; [unrolled: 1-line block ×13, first 2 shown]
	s_mov_b32 s50, 0xbacdbbdd
	v_add_f16_e32 v55, v38, v55
	v_pk_mul_f16 v3, v3, s33 op_sel_hi:[0,1]
	v_pk_mul_f16 v71, v71, s50
	s_mov_b32 s50, 0xb836b1e1
	v_pk_add_f16 v58, v58, v56
	v_add_f16_e32 v55, v39, v55
	v_mul_u32_u24_e32 v56, 34, v12
	v_pk_add_f16 v3, v54, v3 op_sel:[1,1] op_sel_hi:[0,0] neg_lo:[0,1] neg_hi:[0,1]
	v_pk_mul_f16 v54, v72, s50
	s_mov_b32 s51, 0x37223b76
	v_add_f16_e32 v55, v40, v55
	v_add3_u32 v56, 0, v56, v10
	v_pk_mul_f16 v70, v70, s51
	s_mov_b32 s51, 0x3b2935c8
	v_pk_add_f16 v54, v71, v54 op_sel:[1,1] op_sel_hi:[0,0] neg_lo:[0,1] neg_hi:[0,1]
	s_mov_b32 s52, 0x2de8bacd
	ds_write_b16 v56, v55
	v_perm_b32 v55, v0, v0, s30
	v_pk_mul_f16 v41, v41, s34 op_sel_hi:[0,1]
	v_pk_add_f16 v54, v0, v54 op_sel_hi:[0,1]
	v_pk_add_f16 v0, v0, v3 op_sel_hi:[0,1]
	v_pk_mul_f16 v3, v74, s51
	v_pk_mul_f16 v69, v69, s52
	s_mov_b32 s52, 0xbbf7b836
	s_mov_b32 s53, 0xb8d239e9
	v_pk_mul_f16 v42, v42, s35 op_sel_hi:[0,1]
	v_pk_add_f16 v41, v53, v41 op_sel:[1,1] op_sel_hi:[0,0] neg_lo:[0,1] neg_hi:[0,1]
	v_pk_mul_f16 v53, v76, s52
	v_pk_mul_f16 v68, v68, s53
	s_mov_b32 s53, 0x3a623964
	v_pk_add_f16 v3, v70, v3 op_sel:[1,1] op_sel_hi:[0,0] neg_lo:[0,1] neg_hi:[0,1]
	s_mov_b32 s54, 0x3b76b8d2
	v_pk_mul_f16 v43, v43, s36 op_sel_hi:[0,1]
	v_pk_add_f16 v3, v54, v3
	v_pk_mul_f16 v54, v78, s53
	v_pk_mul_f16 v67, v67, s54
	s_mov_b32 s54, 0xb5c8ba62
	v_pk_add_f16 v0, v0, v41
	s_mov_b32 s55, 0xbbdd3722
	v_pk_add_f16 v42, v51, v42 op_sel:[1,1] op_sel_hi:[0,0] neg_lo:[0,1] neg_hi:[0,1]
	v_pk_add_f16 v53, v69, v53 op_sel:[1,1] op_sel_hi:[0,0] neg_lo:[0,1] neg_hi:[0,1]
	v_pk_mul_f16 v44, v44, s37 op_sel_hi:[0,1]
	v_pk_mul_f16 v41, v80, s54
	v_pk_mul_f16 v66, v66, s55
	s_mov_b32 s55, 0xb1e13b29
	s_mov_b32 s56, 0x39e9b461
	v_pk_add_f16 v3, v3, v53
	v_pk_add_f16 v0, v0, v42
	v_pk_add_f16 v54, v68, v54 op_sel:[1,1] op_sel_hi:[0,0] neg_lo:[0,1] neg_hi:[0,1]
	v_pk_add_f16 v43, v47, v43 op_sel:[1,1] op_sel_hi:[0,0] neg_lo:[0,1] neg_hi:[0,1]
	v_pk_mul_f16 v45, v45, s38 op_sel_hi:[0,1]
	v_pk_mul_f16 v51, v82, s55
	v_pk_mul_f16 v65, v65, s56
	s_mov_b32 s56, 0x3964bbb2
	s_mov_b32 s57, 0xb4612de8
	v_pk_add_f16 v3, v3, v54
	v_pk_add_f16 v0, v0, v43
	v_pk_add_f16 v41, v67, v41 op_sel:[1,1] op_sel_hi:[0,0] neg_lo:[0,1] neg_hi:[0,1]
	v_pk_add_f16 v43, v48, v44 op_sel:[1,1] op_sel_hi:[0,0] neg_lo:[0,1] neg_hi:[0,1]
	v_pk_mul_f16 v46, v46, s39 op_sel_hi:[0,1]
	v_pk_mul_f16 v53, v75, s56
	v_pk_mul_f16 v64, v64, s57
	s_mov_b32 s57, 0xbbb23bf7
	v_pk_add_f16 v3, v3, v41
	v_pk_add_f16 v0, v0, v43
	v_pk_add_f16 v41, v66, v51 op_sel:[1,1] op_sel_hi:[0,0] neg_lo:[0,1] neg_hi:[0,1]
	v_pk_add_f16 v43, v49, v45 op_sel:[1,1] op_sel_hi:[0,0] neg_lo:[0,1] neg_hi:[0,1]
	v_pk_mul_f16 v57, v57, s40 op_sel_hi:[0,1]
	v_pk_mul_f16 v42, v79, s57
	v_pk_add_f16 v3, v3, v41
	v_pk_add_f16 v0, v0, v43
	v_pk_add_f16 v41, v65, v53 op_sel:[1,1] op_sel_hi:[0,0] neg_lo:[0,1] neg_hi:[0,1]
	v_pk_add_f16 v43, v50, v46 op_sel:[1,1] op_sel_hi:[0,0] neg_lo:[0,1] neg_hi:[0,1]
	v_pk_add_f16 v3, v3, v41
	v_pk_add_f16 v0, v0, v43
	v_pk_add_f16 v41, v64, v42 op_sel:[1,1] op_sel_hi:[0,0] neg_lo:[0,1] neg_hi:[0,1]
	v_pk_add_f16 v42, v52, v57 op_sel:[1,1] op_sel_hi:[0,0] neg_lo:[0,1] neg_hi:[0,1]
	v_pk_add_f16 v60, v0, v42
	v_pk_fma_f16 v0, v72, s50, v71
	v_pk_add_f16 v61, v3, v41
	v_pk_add_f16 v0, v55, v0
	v_pk_fma_f16 v3, v74, s51, v70
	v_pk_fma_f16 v41, v74, s43, v85
	v_pk_add_f16 v0, v0, v3
	v_pk_fma_f16 v3, v76, s52, v69
	ds_write_b128 v56, v[58:61] offset:2
	v_pk_add_f16 v0, v0, v3
	v_pk_fma_f16 v3, v78, s53, v68
	s_nop 0
	v_pk_add_f16 v0, v0, v3
	v_pk_fma_f16 v3, v80, s54, v67
	s_nop 0
	;; [unrolled: 3-line block ×6, first 2 shown]
	v_pk_add_f16 v3, v55, v3
	s_nop 0
	v_pk_add_f16 v3, v3, v41
	v_pk_fma_f16 v41, v76, s44, v63
	s_nop 0
	v_pk_add_f16 v3, v3, v41
	v_pk_fma_f16 v41, v78, s45, v62
	;; [unrolled: 3-line block ×6, first 2 shown]
	s_nop 0
	v_pk_add_f16 v3, v3, v41
	ds_write_b128 v56, v[0:3] offset:18
.LBB0_12:
	s_or_b64 exec, exec, s[2:3]
	v_sub_f16_e32 v70, v5, v40
	v_add_f16_e32 v56, v13, v24
	v_sub_f16_e32 v63, v6, v39
	v_pk_mul_f16 v55, v70, s24 op_sel_hi:[0,1]
	v_add_f16_e32 v57, v16, v25
	v_sub_f16_e32 v64, v7, v38
	v_pk_fma_f16 v0, v56, s6, v55 op_sel_hi:[0,1,1] neg_lo:[0,0,1] neg_hi:[0,0,1]
	v_pk_mul_f16 v54, v63, s25 op_sel_hi:[0,1]
	v_add_f16_e32 v58, v18, v26
	v_sub_f16_e32 v65, v11, v37
	v_pk_add_f16 v0, v4, v0 op_sel_hi:[0,1]
	v_pk_fma_f16 v3, v57, s7, v54 op_sel_hi:[0,1,1] neg_lo:[0,0,1] neg_hi:[0,0,1]
	v_pk_mul_f16 v53, v64, s26 op_sel_hi:[0,1]
	v_add_f16_e32 v7, v19, v27
	v_sub_f16_e32 v66, v14, v36
	v_pk_add_f16 v0, v0, v3
	v_pk_fma_f16 v3, v58, s10, v53 op_sel_hi:[0,1,1] neg_lo:[0,0,1] neg_hi:[0,0,1]
	v_pk_mul_f16 v52, v65, s27 op_sel_hi:[0,1]
	v_add_f16_e32 v59, v20, v28
	v_sub_f16_e32 v67, v15, v35
	v_pk_add_f16 v0, v0, v3
	;; [unrolled: 5-line block ×4, first 2 shown]
	v_pk_fma_f16 v3, v60, s13, v50 op_sel_hi:[0,1,1] neg_lo:[0,0,1] neg_hi:[0,0,1]
	v_pk_mul_f16 v49, v68, s31 op_sel_hi:[0,1]
	v_add_f16_e32 v62, v23, v31
	v_pk_add_f16 v0, v0, v3
	v_pk_fma_f16 v3, v61, s14, v49 op_sel_hi:[0,1,1] neg_lo:[0,0,1] neg_hi:[0,0,1]
	v_pk_mul_f16 v48, v69, s41 op_sel_hi:[0,1]
	v_pk_add_f16 v0, v0, v3
	v_pk_fma_f16 v3, v62, s23, v48 op_sel_hi:[0,1,1] neg_lo:[0,0,1] neg_hi:[0,0,1]
	v_pk_mul_f16 v47, v70, s33 op_sel_hi:[0,1]
	v_pk_add_f16 v6, v0, v3
	v_pk_fma_f16 v0, v56, s15, v47 op_sel_hi:[0,1,1] neg_lo:[0,0,1] neg_hi:[0,0,1]
	v_pk_mul_f16 v46, v63, s34 op_sel_hi:[0,1]
	v_pk_add_f16 v0, v4, v0 op_sel_hi:[0,1]
	v_pk_fma_f16 v3, v57, s16, v46 op_sel_hi:[0,1,1] neg_lo:[0,0,1] neg_hi:[0,0,1]
	v_pk_mul_f16 v45, v64, s35 op_sel_hi:[0,1]
	v_pk_add_f16 v0, v0, v3
	v_pk_fma_f16 v3, v58, s17, v45 op_sel_hi:[0,1,1] neg_lo:[0,0,1] neg_hi:[0,0,1]
	v_pk_mul_f16 v43, v65, s36 op_sel_hi:[0,1]
	v_pk_add_f16 v0, v0, v3
	;; [unrolled: 3-line block ×5, first 2 shown]
	v_pk_fma_f16 v3, v61, s21, v40 op_sel_hi:[0,1,1] neg_lo:[0,0,1] neg_hi:[0,0,1]
	v_pk_add_f16 v5, v0, v3
	v_lshlrev_b32_e32 v0, 1, v12
	v_add3_u32 v3, 0, v10, v0
	v_add_u32_e32 v44, 0, v0
	s_waitcnt lgkmcnt(0)
	s_barrier
	v_add_u32_e32 v0, v44, v10
	ds_read_u16 v11, v3
	ds_read_u16 v38, v0 offset:170
	ds_read_u16 v37, v0 offset:340
	;; [unrolled: 1-line block ×10, first 2 shown]
	v_pk_mul_f16 v39, v69, s40 op_sel_hi:[0,1]
	v_pk_fma_f16 v71, v62, s22, v39 op_sel_hi:[0,1,1] neg_lo:[0,0,1] neg_hi:[0,0,1]
	v_pk_add_f16 v5, v5, v71
	s_waitcnt lgkmcnt(0)
	s_barrier
	s_and_saveexec_b64 s[2:3], s[0:1]
	s_cbranch_execz .LBB0_14
; %bb.13:
	v_pack_b32_f16 v75, v7, v7
	v_pk_mul_f16 v83, v7, s11 op_sel_hi:[0,1]
	v_pk_mul_f16 v88, v7, s18 op_sel_hi:[0,1]
	v_add_f16_e32 v7, v4, v13
	v_add_f16_e32 v7, v7, v16
	;; [unrolled: 1-line block ×13, first 2 shown]
	v_pack_b32_f16 v70, v70, v70
	v_add_f16_e32 v7, v26, v7
	s_mov_b32 s1, 0xb5c8b964
	v_pack_b32_f16 v71, v56, v56
	v_pack_b32_f16 v63, v63, v63
	v_add_f16_e32 v7, v25, v7
	s_mov_b32 s0, 0x3b7639e9
	v_pk_mul_f16 v18, v70, s1
	s_mov_b32 s1, 0xb964bbf7
	v_perm_b32 v72, v4, v4, s30
	v_pack_b32_f16 v73, v57, v57
	v_pack_b32_f16 v64, v64, v64
	v_pk_mul_f16 v80, v56, s6 op_sel_hi:[0,1]
	v_add_f16_e32 v13, v24, v7
	v_pk_mul_f16 v16, v71, s0
	v_pk_fma_f16 v7, v71, s0, v18 neg_lo:[0,0,1] neg_hi:[0,0,1]
	s_mov_b32 s0, 0x39e92de8
	v_pk_mul_f16 v20, v63, s1
	s_mov_b32 s1, 0xbb29ba62
	v_pack_b32_f16 v74, v58, v58
	v_pack_b32_f16 v65, v65, v65
	v_pk_mul_f16 v81, v57, s7 op_sel_hi:[0,1]
	v_pk_add_f16 v7, v72, v7
	v_pk_mul_f16 v19, v73, s0
	v_pk_fma_f16 v21, v73, s0, v20 neg_lo:[0,0,1] neg_hi:[0,0,1]
	s_mov_b32 s0, 0x3722b8d2
	v_pk_mul_f16 v22, v64, s1
	s_mov_b32 s1, 0xbbf7b1e1
	v_pk_add_f16 v16, v16, v18 op_sel:[1,1] op_sel_hi:[0,0]
	v_pk_add_f16 v18, v80, v55 op_sel:[1,1] op_sel_hi:[0,0]
	v_pack_b32_f16 v66, v66, v66
	v_pk_mul_f16 v82, v58, s10 op_sel_hi:[0,1]
	v_pk_add_f16 v7, v7, v21
	v_pk_mul_f16 v21, v74, s0
	v_pk_fma_f16 v23, v74, s0, v22 neg_lo:[0,0,1] neg_hi:[0,0,1]
	s_mov_b32 s0, 0x2de8bbdd
	v_pk_mul_f16 v24, v65, s1
	s_mov_b32 s1, 0xbbb23836
	v_pk_add_f16 v16, v4, v16 op_sel_hi:[0,1]
	v_pk_add_f16 v18, v4, v18 op_sel_hi:[0,1]
	v_pk_add_f16 v19, v19, v20 op_sel:[1,1] op_sel_hi:[0,0]
	v_pk_add_f16 v20, v81, v54 op_sel:[1,1] op_sel_hi:[0,0]
	v_pack_b32_f16 v76, v59, v59
	v_pack_b32_f16 v67, v67, v67
	v_pk_add_f16 v7, v7, v23
	v_pk_mul_f16 v23, v75, s0
	v_pk_fma_f16 v25, v75, s0, v24 neg_lo:[0,0,1] neg_hi:[0,0,1]
	s_mov_b32 s0, 0xb461bacd
	v_pk_mul_f16 v26, v66, s1
	s_mov_b32 s1, 0xba623bb2
	v_pk_add_f16 v16, v16, v19
	v_pk_add_f16 v18, v18, v20
	v_pk_add_f16 v19, v21, v22 op_sel:[1,1] op_sel_hi:[0,0]
	v_pk_add_f16 v20, v82, v53 op_sel:[1,1] op_sel_hi:[0,0]
	v_pack_b32_f16 v77, v60, v60
	v_pk_mul_f16 v84, v59, s12 op_sel_hi:[0,1]
	v_pk_add_f16 v7, v7, v25
	v_pk_mul_f16 v25, v76, s0
	v_pk_fma_f16 v27, v76, s0, v26 neg_lo:[0,0,1] neg_hi:[0,0,1]
	s_mov_b32 s0, 0xb8d2b461
	v_pk_mul_f16 v28, v67, s1
	v_pk_add_f16 v16, v16, v19
	v_pk_add_f16 v18, v18, v20
	v_pk_add_f16 v19, v23, v24 op_sel:[1,1] op_sel_hi:[0,0]
	v_pk_add_f16 v20, v83, v52 op_sel:[1,1] op_sel_hi:[0,0]
	v_pack_b32_f16 v78, v61, v61
	v_pack_b32_f16 v68, v68, v68
	v_pk_mul_f16 v85, v60, s13 op_sel_hi:[0,1]
	v_pk_add_f16 v7, v7, v27
	v_pk_mul_f16 v27, v77, s0
	v_pk_fma_f16 v29, v77, s0, v28 neg_lo:[0,0,1] neg_hi:[0,0,1]
	s_mov_b32 s0, 0xbacd3722
	s_mov_b32 s1, 0xb8363b29
	v_pk_add_f16 v16, v16, v19
	v_pk_add_f16 v18, v18, v20
	v_pk_add_f16 v19, v25, v26 op_sel:[1,1] op_sel_hi:[0,0]
	v_pk_add_f16 v20, v84, v51 op_sel:[1,1] op_sel_hi:[0,0]
	v_pk_mul_f16 v86, v61, s14 op_sel_hi:[0,1]
	v_pk_add_f16 v7, v7, v29
	v_pk_mul_f16 v29, v78, s0
	v_pk_mul_f16 v30, v68, s1
	v_pk_add_f16 v16, v16, v19
	v_pk_add_f16 v18, v18, v20
	v_pk_add_f16 v19, v27, v28 op_sel:[1,1] op_sel_hi:[0,0]
	v_pk_add_f16 v20, v85, v50 op_sel:[1,1] op_sel_hi:[0,0]
	v_pack_b32_f16 v79, v62, v62
	v_pack_b32_f16 v69, v69, v69
	v_pk_mul_f16 v87, v62, s23 op_sel_hi:[0,1]
	v_pk_fma_f16 v31, v78, s0, v30 neg_lo:[0,0,1] neg_hi:[0,0,1]
	s_mov_b32 s0, 0xbbdd3b76
	s_mov_b32 s1, 0xb1e135c8
	v_pk_add_f16 v16, v16, v19
	v_pk_add_f16 v18, v18, v20
	v_pk_add_f16 v19, v29, v30 op_sel:[1,1] op_sel_hi:[0,0]
	v_pk_add_f16 v20, v86, v49 op_sel:[1,1] op_sel_hi:[0,0]
	v_pk_add_f16 v7, v7, v31
	v_pk_mul_f16 v31, v79, s0
	v_pk_mul_f16 v89, v69, s1
	v_pk_add_f16 v16, v16, v19
	v_pk_add_f16 v19, v18, v20
	v_pk_add_f16 v20, v87, v48 op_sel:[1,1] op_sel_hi:[0,0]
	s_mov_b32 s1, 0xb836b1e1
	v_pk_fma_f16 v90, v79, s0, v89 neg_lo:[0,0,1] neg_hi:[0,0,1]
	v_pk_add_f16 v18, v31, v89 op_sel:[1,1] op_sel_hi:[0,0]
	v_pk_add_f16 v19, v19, v20
	s_mov_b32 s0, 0xbacdbbdd
	v_pk_mul_f16 v20, v70, s1
	s_mov_b32 s1, 0x3b2935c8
	v_pk_mul_f16 v56, v56, s15 op_sel_hi:[0,1]
	v_pk_add_f16 v18, v16, v18
	v_pk_mul_f16 v16, v71, s0
	v_pk_fma_f16 v21, v71, s0, v20 neg_lo:[0,0,1] neg_hi:[0,0,1]
	s_mov_b32 s0, 0x37223b76
	v_pk_mul_f16 v23, v63, s1
	s_mov_b32 s1, 0xbbf7b836
	v_pk_add_f16 v21, v72, v21
	v_pk_mul_f16 v22, v73, s0
	v_pk_fma_f16 v24, v73, s0, v23 neg_lo:[0,0,1] neg_hi:[0,0,1]
	s_mov_b32 s0, 0x2de8bacd
	v_pk_mul_f16 v25, v64, s1
	s_mov_b32 s1, 0x3a623964
	v_pk_add_f16 v16, v16, v20 op_sel:[1,1] op_sel_hi:[0,0]
	v_pk_add_f16 v20, v56, v47 op_sel:[1,1] op_sel_hi:[0,0]
	v_pk_add_f16 v21, v21, v24
	v_pk_mul_f16 v24, v74, s0
	v_pk_fma_f16 v26, v74, s0, v25 neg_lo:[0,0,1] neg_hi:[0,0,1]
	s_mov_b32 s0, 0xb8d239e9
	v_pk_mul_f16 v27, v65, s1
	s_mov_b32 s1, 0xb5c8ba62
	v_pk_add_f16 v16, v4, v16 op_sel_hi:[0,1]
	v_pk_add_f16 v4, v4, v20 op_sel_hi:[0,1]
	v_pk_add_f16 v20, v22, v23 op_sel:[1,1] op_sel_hi:[0,0]
	v_pk_mul_f16 v57, v57, s16 op_sel_hi:[0,1]
	v_pk_add_f16 v21, v21, v26
	v_pk_mul_f16 v26, v75, s0
	v_pk_fma_f16 v28, v75, s0, v27 neg_lo:[0,0,1] neg_hi:[0,0,1]
	s_mov_b32 s0, 0x3b76b8d2
	v_pk_mul_f16 v29, v66, s1
	s_mov_b32 s1, 0xb1e13b29
	v_pk_add_f16 v16, v16, v20
	v_pk_add_f16 v20, v24, v25 op_sel:[1,1] op_sel_hi:[0,0]
	v_pk_mul_f16 v58, v58, s17 op_sel_hi:[0,1]
	v_pk_add_f16 v21, v21, v28
	v_pk_mul_f16 v28, v76, s0
	v_pk_fma_f16 v30, v76, s0, v29 neg_lo:[0,0,1] neg_hi:[0,0,1]
	s_mov_b32 s0, 0xbbdd3722
	v_pk_mul_f16 v31, v67, s1
	s_mov_b32 s1, 0x3964bbb2
	v_pk_add_f16 v22, v57, v46 op_sel:[1,1] op_sel_hi:[0,0]
	v_pk_add_f16 v16, v16, v20
	v_pk_add_f16 v20, v26, v27 op_sel:[1,1] op_sel_hi:[0,0]
	v_pk_add_f16 v21, v21, v30
	v_pk_mul_f16 v30, v77, s0
	v_pk_fma_f16 v48, v77, s0, v31 neg_lo:[0,0,1] neg_hi:[0,0,1]
	s_mov_b32 s0, 0x39e9b461
	v_pk_mul_f16 v49, v68, s1
	v_pk_add_f16 v4, v4, v22
	v_pk_add_f16 v22, v58, v45 op_sel:[1,1] op_sel_hi:[0,0]
	v_pk_add_f16 v16, v16, v20
	v_pk_add_f16 v20, v28, v29 op_sel:[1,1] op_sel_hi:[0,0]
	v_pk_mul_f16 v59, v59, s19 op_sel_hi:[0,1]
	v_pk_add_f16 v21, v21, v48
	v_pk_mul_f16 v48, v78, s0
	v_pk_fma_f16 v50, v78, s0, v49 neg_lo:[0,0,1] neg_hi:[0,0,1]
	s_mov_b32 s0, 0xb4612de8
	s_mov_b32 s1, 0xbbb23bf7
	v_pk_add_f16 v4, v4, v22
	v_pk_add_f16 v22, v88, v43 op_sel:[1,1] op_sel_hi:[0,0]
	v_pk_add_f16 v16, v16, v20
	v_pk_add_f16 v20, v30, v31 op_sel:[1,1] op_sel_hi:[0,0]
	v_pk_mul_f16 v60, v60, s20 op_sel_hi:[0,1]
	v_pk_add_f16 v50, v21, v50
	v_pk_mul_f16 v21, v79, s0
	v_pk_mul_f16 v51, v69, s1
	v_pk_add_f16 v4, v4, v22
	v_pk_add_f16 v22, v59, v42 op_sel:[1,1] op_sel_hi:[0,0]
	v_pk_add_f16 v16, v16, v20
	v_pk_add_f16 v20, v48, v49 op_sel:[1,1] op_sel_hi:[0,0]
	v_pk_mul_f16 v61, v61, s21 op_sel_hi:[0,1]
	v_pk_add_f16 v4, v4, v22
	v_pk_add_f16 v22, v60, v41 op_sel:[1,1] op_sel_hi:[0,0]
	v_pk_add_f16 v16, v16, v20
	v_pk_add_f16 v20, v21, v51 op_sel:[1,1] op_sel_hi:[0,0]
	v_pk_mul_f16 v62, v62, s22 op_sel_hi:[0,1]
	v_pk_add_f16 v4, v4, v22
	v_pk_add_f16 v22, v61, v40 op_sel:[1,1] op_sel_hi:[0,0]
	v_pk_add_f16 v21, v16, v20
	v_lshlrev_b32_e32 v16, 5, v12
	v_pk_fma_f16 v52, v79, s0, v51 neg_lo:[0,0,1] neg_hi:[0,0,1]
	v_pk_add_f16 v4, v4, v22
	v_pk_add_f16 v22, v62, v39 op_sel:[1,1] op_sel_hi:[0,0]
	v_add3_u32 v16, v44, v16, v10
	v_pk_add_f16 v7, v7, v90
	v_pk_add_f16 v20, v4, v22
	v_pk_add_f16 v4, v50, v52
	ds_write_b16 v16, v13
	ds_write_b128 v16, v[18:21] offset:2
	ds_write_b128 v16, v[4:7] offset:18
.LBB0_14:
	s_or_b64 exec, exec, s[2:3]
	s_movk_i32 s0, 0xf1
	v_mul_lo_u16_sdwa v4, v12, s0 dst_sel:DWORD dst_unused:UNUSED_PAD src0_sel:BYTE_0 src1_sel:DWORD
	v_lshrrev_b16_e32 v13, 12, v4
	v_mul_lo_u16_e32 v4, 17, v13
	v_sub_u16_e32 v16, v12, v4
	v_mov_b32_e32 v4, 10
	v_mul_u32_u24_sdwa v4, v16, v4 dst_sel:DWORD dst_unused:UNUSED_PAD src0_sel:BYTE_0 src1_sel:DWORD
	v_lshlrev_b32_e32 v4, 2, v4
	s_waitcnt lgkmcnt(0)
	s_barrier
	global_load_dwordx4 v[18:21], v4, s[4:5]
	global_load_dwordx4 v[42:45], v4, s[4:5] offset:16
	global_load_dwordx2 v[46:47], v4, s[4:5] offset:32
	ds_read_u16 v25, v3
	ds_read_u16 v4, v0 offset:170
	ds_read_u16 v7, v0 offset:340
	;; [unrolled: 1-line block ×10, first 2 shown]
	s_movk_i32 s10, 0x3abb
	s_movk_i32 s6, 0x36a6
	s_mov_b32 s7, 0xb08e
	s_mov_b32 s11, 0xb93d
	;; [unrolled: 1-line block ×3, first 2 shown]
	s_movk_i32 s0, 0x176
	v_mad_u32_u24 v13, v13, s0, 0
	s_waitcnt lgkmcnt(0)
	s_barrier
	v_cmp_gt_u32_e64 s[0:1], 17, v12
	s_waitcnt vmcnt(2)
	v_mul_f16_sdwa v27, v4, v18 dst_sel:DWORD dst_unused:UNUSED_PAD src0_sel:DWORD src1_sel:WORD_1
	v_mul_f16_sdwa v28, v38, v18 dst_sel:DWORD dst_unused:UNUSED_PAD src0_sel:DWORD src1_sel:WORD_1
	;; [unrolled: 1-line block ×3, first 2 shown]
	v_fma_f16 v39, v38, v18, -v27
	v_mul_f16_sdwa v31, v37, v19 dst_sel:DWORD dst_unused:UNUSED_PAD src0_sel:DWORD src1_sel:WORD_1
	v_mul_f16_sdwa v50, v22, v20 dst_sel:DWORD dst_unused:UNUSED_PAD src0_sel:DWORD src1_sel:WORD_1
	v_fma_f16 v40, v4, v18, v28
	v_fma_f16 v37, v37, v19, -v29
	v_add_f16_e32 v4, v11, v39
	v_mul_f16_sdwa v52, v23, v21 dst_sel:DWORD dst_unused:UNUSED_PAD src0_sel:DWORD src1_sel:WORD_1
	v_fma_f16 v38, v7, v19, v31
	v_fma_f16 v31, v36, v20, -v50
	v_add_f16_e32 v4, v4, v37
	s_waitcnt vmcnt(1)
	v_mul_f16_sdwa v54, v24, v42 dst_sel:DWORD dst_unused:UNUSED_PAD src0_sel:DWORD src1_sel:WORD_1
	v_fma_f16 v27, v35, v21, -v52
	v_add_f16_e32 v4, v4, v31
	v_mul_f16_sdwa v53, v35, v21 dst_sel:DWORD dst_unused:UNUSED_PAD src0_sel:DWORD src1_sel:WORD_1
	v_mul_f16_sdwa v55, v34, v42 dst_sel:DWORD dst_unused:UNUSED_PAD src0_sel:DWORD src1_sel:WORD_1
	;; [unrolled: 1-line block ×3, first 2 shown]
	v_fma_f16 v7, v34, v42, -v54
	v_add_f16_e32 v4, v4, v27
	v_mul_f16_sdwa v58, v30, v44 dst_sel:DWORD dst_unused:UNUSED_PAD src0_sel:DWORD src1_sel:WORD_1
	v_fma_f16 v28, v23, v21, v53
	v_fma_f16 v23, v24, v42, v55
	v_fma_f16 v24, v33, v43, -v56
	v_add_f16_e32 v4, v4, v7
	v_mul_f16_sdwa v60, v41, v45 dst_sel:DWORD dst_unused:UNUSED_PAD src0_sel:DWORD src1_sel:WORD_1
	s_waitcnt vmcnt(0)
	v_mul_f16_sdwa v65, v14, v47 dst_sel:DWORD dst_unused:UNUSED_PAD src0_sel:DWORD src1_sel:WORD_1
	v_fma_f16 v29, v32, v44, -v58
	v_add_f16_e32 v4, v4, v24
	v_mul_f16_sdwa v59, v32, v44 dst_sel:DWORD dst_unused:UNUSED_PAD src0_sel:DWORD src1_sel:WORD_1
	v_mul_f16_sdwa v61, v17, v45 dst_sel:DWORD dst_unused:UNUSED_PAD src0_sel:DWORD src1_sel:WORD_1
	;; [unrolled: 1-line block ×4, first 2 shown]
	v_fma_f16 v32, v17, v45, -v60
	v_fma_f16 v42, v49, v47, v65
	v_add_f16_e32 v4, v4, v29
	v_mul_f16_sdwa v51, v36, v20 dst_sel:DWORD dst_unused:UNUSED_PAD src0_sel:DWORD src1_sel:WORD_1
	v_mul_f16_sdwa v57, v33, v43 dst_sel:DWORD dst_unused:UNUSED_PAD src0_sel:DWORD src1_sel:WORD_1
	;; [unrolled: 1-line block ×3, first 2 shown]
	v_fma_f16 v33, v41, v45, v61
	v_fma_f16 v34, v15, v46, -v62
	v_fma_f16 v41, v14, v47, -v64
	v_sub_f16_e32 v15, v40, v42
	v_add_f16_e32 v4, v4, v32
	v_fma_f16 v36, v22, v20, v51
	v_fma_f16 v35, v48, v46, v63
	v_add_f16_e32 v14, v39, v41
	v_mul_f16_e32 v17, 0xb853, v15
	v_mul_f16_e32 v18, 0xbb47, v15
	;; [unrolled: 1-line block ×4, first 2 shown]
	v_add_f16_e32 v4, v4, v34
	v_mul_f16_e32 v15, 0xb482, v15
	v_fma_f16 v26, v26, v43, v57
	v_fma_f16 v30, v30, v44, v59
	v_fma_f16 v21, v14, s10, -v17
	v_fma_f16 v17, v14, s10, v17
	v_fma_f16 v22, v14, s6, -v18
	;; [unrolled: 2-line block ×4, first 2 shown]
	v_add_f16_e32 v45, v4, v41
	v_fma_f16 v4, v14, s11, v20
	v_fma_f16 v20, v14, s12, -v15
	v_fma_f16 v14, v14, s12, v15
	v_sub_f16_e32 v15, v38, v35
	v_add_f16_e32 v21, v11, v21
	v_add_f16_e32 v17, v11, v17
	;; [unrolled: 1-line block ×11, first 2 shown]
	v_mul_f16_e32 v46, 0xbb47, v15
	v_fma_f16 v47, v14, s6, -v46
	v_fma_f16 v46, v14, s6, v46
	v_add_f16_e32 v17, v46, v17
	v_mul_f16_e32 v46, 0xba0c, v15
	v_add_f16_e32 v21, v47, v21
	v_fma_f16 v47, v14, s11, -v46
	v_fma_f16 v46, v14, s11, v46
	v_add_f16_e32 v18, v46, v18
	v_mul_f16_e32 v46, 0x3482, v15
	v_add_f16_e32 v22, v47, v22
	;; [unrolled: 5-line block ×3, first 2 shown]
	v_fma_f16 v47, v14, s7, -v46
	v_fma_f16 v46, v14, s7, v46
	v_mul_f16_e32 v15, 0x3853, v15
	v_add_f16_e32 v4, v46, v4
	v_fma_f16 v46, v14, s10, -v15
	v_fma_f16 v14, v14, s10, v15
	v_sub_f16_e32 v15, v36, v33
	v_add_f16_e32 v20, v46, v20
	v_add_f16_e32 v11, v14, v11
	;; [unrolled: 1-line block ×3, first 2 shown]
	v_mul_f16_e32 v46, 0xbbeb, v15
	v_add_f16_e32 v44, v47, v44
	v_fma_f16 v47, v14, s7, -v46
	v_fma_f16 v46, v14, s7, v46
	v_add_f16_e32 v17, v46, v17
	v_mul_f16_e32 v46, 0x3482, v15
	v_add_f16_e32 v21, v47, v21
	v_fma_f16 v47, v14, s12, -v46
	v_fma_f16 v46, v14, s12, v46
	v_add_f16_e32 v18, v46, v18
	;; [unrolled: 5-line block ×3, first 2 shown]
	v_mul_f16_e32 v46, 0xb853, v15
	v_add_f16_e32 v43, v47, v43
	v_fma_f16 v47, v14, s10, -v46
	v_fma_f16 v46, v14, s10, v46
	v_mul_f16_e32 v15, 0xba0c, v15
	v_add_f16_e32 v4, v46, v4
	v_fma_f16 v46, v14, s11, -v15
	v_fma_f16 v14, v14, s11, v15
	v_sub_f16_e32 v15, v28, v30
	v_add_f16_e32 v20, v46, v20
	v_add_f16_e32 v11, v14, v11
	;; [unrolled: 1-line block ×3, first 2 shown]
	v_mul_f16_e32 v46, 0xba0c, v15
	v_add_f16_e32 v44, v47, v44
	v_fma_f16 v47, v14, s11, -v46
	v_fma_f16 v46, v14, s11, v46
	v_add_f16_e32 v17, v46, v17
	v_mul_f16_e32 v46, 0x3beb, v15
	v_add_f16_e32 v21, v47, v21
	v_fma_f16 v47, v14, s7, -v46
	v_fma_f16 v46, v14, s7, v46
	v_add_f16_e32 v18, v46, v18
	v_mul_f16_e32 v46, 0xb853, v15
	v_add_f16_e32 v22, v47, v22
	v_fma_f16 v47, v14, s10, -v46
	v_fma_f16 v46, v14, s10, v46
	v_add_f16_e32 v19, v46, v19
	v_mul_f16_e32 v46, 0xb482, v15
	v_add_f16_e32 v43, v47, v43
	v_fma_f16 v47, v14, s12, -v46
	v_fma_f16 v46, v14, s12, v46
	v_add_f16_e32 v46, v46, v4
	v_mul_f16_e32 v4, 0x3b47, v15
	v_fma_f16 v15, v14, s6, -v4
	v_add_f16_e32 v15, v15, v20
	v_fma_f16 v4, v14, s6, v4
	v_sub_f16_e32 v20, v23, v26
	v_add_f16_e32 v11, v4, v11
	v_add_f16_e32 v14, v7, v24
	v_mul_f16_e32 v4, 0xb482, v20
	v_add_f16_e32 v44, v47, v44
	v_fma_f16 v47, v14, s12, -v4
	v_fma_f16 v4, v14, s12, v4
	v_add_f16_e32 v4, v4, v17
	v_mul_f16_e32 v17, 0x3853, v20
	v_add_f16_e32 v21, v47, v21
	v_fma_f16 v47, v14, s10, -v17
	v_fma_f16 v17, v14, s10, v17
	;; [unrolled: 5-line block ×4, first 2 shown]
	v_mul_f16_e32 v20, 0xbbeb, v20
	v_add_f16_e32 v19, v19, v46
	v_fma_f16 v46, v14, s7, -v20
	v_fma_f16 v14, v14, s7, v20
	v_add_f16_e32 v11, v14, v11
	v_mov_b32_e32 v14, 1
	v_lshlrev_b32_sdwa v14, v14, v16 dst_sel:DWORD dst_unused:UNUSED_PAD src0_sel:DWORD src1_sel:BYTE_0
	v_add_f16_e32 v15, v46, v15
	v_add3_u32 v10, v13, v14, v10
	v_add_f16_e32 v44, v47, v44
	ds_write_b16 v10, v45
	ds_write_b16 v10, v21 offset:34
	ds_write_b16 v10, v22 offset:68
	;; [unrolled: 1-line block ×10, first 2 shown]
	s_waitcnt lgkmcnt(0)
	s_barrier
	ds_read_u16 v13, v3
	ds_read_u16 v19, v0 offset:1292
	ds_read_u16 v14, v0 offset:1122
	;; [unrolled: 1-line block ×9, first 2 shown]
	s_and_saveexec_b64 s[2:3], s[0:1]
	s_cbranch_execz .LBB0_16
; %bb.15:
	ds_read_u16 v1, v0 offset:1462
	ds_read_u16 v2, v0 offset:1836
	;; [unrolled: 1-line block ×5, first 2 shown]
	s_mov_b32 s13, 0x5040100
	s_waitcnt lgkmcnt(3)
	v_perm_b32 v2, v2, v1, s13
	s_waitcnt lgkmcnt(1)
	v_perm_b32 v1, v43, v11, s13
.LBB0_16:
	s_or_b64 exec, exec, s[2:3]
	v_add_f16_e32 v11, v25, v40
	v_add_f16_e32 v11, v11, v38
	;; [unrolled: 1-line block ×8, first 2 shown]
	v_sub_f16_e32 v39, v39, v41
	v_add_f16_e32 v11, v11, v35
	v_add_f16_e32 v40, v40, v42
	v_mul_f16_e32 v41, 0xb853, v39
	v_mul_f16_e32 v43, 0xbb47, v39
	v_mul_f16_e32 v45, 0xbbeb, v39
	v_mul_f16_e32 v47, 0xba0c, v39
	v_mul_f16_e32 v39, 0xb482, v39
	v_sub_f16_e32 v34, v37, v34
	v_add_f16_e32 v11, v11, v42
	v_fma_f16 v42, v40, s10, v41
	v_fma_f16 v41, v40, s10, -v41
	v_fma_f16 v44, v40, s6, v43
	v_fma_f16 v43, v40, s6, -v43
	;; [unrolled: 2-line block ×5, first 2 shown]
	v_add_f16_e32 v35, v38, v35
	v_mul_f16_e32 v37, 0xbb47, v34
	v_add_f16_e32 v42, v25, v42
	v_add_f16_e32 v41, v25, v41
	;; [unrolled: 1-line block ×10, first 2 shown]
	v_fma_f16 v38, v35, s6, v37
	v_fma_f16 v37, v35, s6, -v37
	v_mul_f16_e32 v39, 0xba0c, v34
	v_add_f16_e32 v37, v37, v41
	v_fma_f16 v40, v35, s11, v39
	v_fma_f16 v39, v35, s11, -v39
	v_mul_f16_e32 v41, 0x3482, v34
	v_add_f16_e32 v38, v38, v42
	v_add_f16_e32 v39, v39, v43
	v_fma_f16 v42, v35, s12, v41
	v_fma_f16 v41, v35, s12, -v41
	v_mul_f16_e32 v43, 0x3beb, v34
	v_mul_f16_e32 v34, 0x3853, v34
	v_sub_f16_e32 v31, v31, v32
	v_add_f16_e32 v41, v41, v45
	v_fma_f16 v45, v35, s10, v34
	v_fma_f16 v34, v35, s10, -v34
	v_add_f16_e32 v33, v36, v33
	v_mul_f16_e32 v32, 0xbbeb, v31
	v_add_f16_e32 v40, v40, v44
	v_fma_f16 v44, v35, s7, v43
	v_fma_f16 v43, v35, s7, -v43
	v_add_f16_e32 v25, v34, v25
	v_fma_f16 v34, v33, s7, v32
	v_fma_f16 v32, v33, s7, -v32
	v_mul_f16_e32 v35, 0x3482, v31
	v_add_f16_e32 v32, v32, v37
	v_fma_f16 v36, v33, s12, v35
	v_fma_f16 v35, v33, s12, -v35
	v_mul_f16_e32 v37, 0x3b47, v31
	v_add_f16_e32 v34, v34, v38
	v_add_f16_e32 v35, v35, v39
	v_fma_f16 v38, v33, s6, v37
	v_fma_f16 v37, v33, s6, -v37
	v_mul_f16_e32 v39, 0xb853, v31
	v_mul_f16_e32 v31, 0xba0c, v31
	v_sub_f16_e32 v27, v27, v29
	v_add_f16_e32 v37, v37, v41
	v_fma_f16 v41, v33, s11, v31
	v_fma_f16 v31, v33, s11, -v31
	v_add_f16_e32 v28, v28, v30
	v_mul_f16_e32 v29, 0xba0c, v27
	v_add_f16_e32 v25, v31, v25
	v_fma_f16 v30, v28, s11, v29
	v_fma_f16 v29, v28, s11, -v29
	v_mul_f16_e32 v31, 0x3beb, v27
	v_add_f16_e32 v36, v36, v40
	v_fma_f16 v40, v33, s10, v39
	v_fma_f16 v39, v33, s10, -v39
	v_add_f16_e32 v29, v29, v32
	v_fma_f16 v32, v28, s7, v31
	v_fma_f16 v31, v28, s7, -v31
	v_mul_f16_e32 v33, 0xb853, v27
	v_add_f16_e32 v30, v30, v34
	v_add_f16_e32 v31, v31, v35
	v_fma_f16 v34, v28, s10, v33
	v_fma_f16 v33, v28, s10, -v33
	v_mul_f16_e32 v35, 0xb482, v27
	v_mul_f16_e32 v27, 0x3b47, v27
	v_sub_f16_e32 v24, v7, v24
	v_add_f16_e32 v33, v33, v37
	v_fma_f16 v37, v28, s6, v27
	v_fma_f16 v27, v28, s6, -v27
	v_add_f16_e32 v23, v23, v26
	v_mul_f16_e32 v7, 0xb482, v24
	v_add_f16_e32 v25, v27, v25
	v_fma_f16 v26, v23, s12, v7
	v_fma_f16 v7, v23, s12, -v7
	v_mul_f16_e32 v27, 0x3853, v24
	v_add_f16_e32 v42, v42, v46
	v_add_f16_e32 v43, v43, v47
	;; [unrolled: 1-line block ×3, first 2 shown]
	v_fma_f16 v36, v28, s12, v35
	v_fma_f16 v35, v28, s12, -v35
	v_add_f16_e32 v7, v7, v29
	v_fma_f16 v28, v23, s10, v27
	v_fma_f16 v27, v23, s10, -v27
	v_mul_f16_e32 v29, 0xba0c, v24
	v_add_f16_e32 v44, v44, v48
	v_add_f16_e32 v45, v45, v49
	;; [unrolled: 1-line block ×6, first 2 shown]
	v_fma_f16 v30, v23, s11, v29
	v_fma_f16 v29, v23, s11, -v29
	v_mul_f16_e32 v31, 0x3b47, v24
	v_mul_f16_e32 v24, 0xbbeb, v24
	v_add_f16_e32 v40, v40, v44
	v_add_f16_e32 v41, v41, v45
	;; [unrolled: 1-line block ×6, first 2 shown]
	v_fma_f16 v32, v23, s6, v31
	v_fma_f16 v31, v23, s6, -v31
	v_fma_f16 v33, v23, s7, v24
	v_fma_f16 v23, v23, s7, -v24
	v_add_f16_e32 v36, v36, v40
	v_add_f16_e32 v37, v37, v41
	;; [unrolled: 1-line block ×7, first 2 shown]
	s_waitcnt lgkmcnt(0)
	s_barrier
	ds_write_b16 v10, v11
	ds_write_b16 v10, v26 offset:34
	ds_write_b16 v10, v28 offset:68
	;; [unrolled: 1-line block ×10, first 2 shown]
	s_waitcnt lgkmcnt(0)
	s_barrier
	ds_read_u16 v3, v3
	ds_read_u16 v28, v0 offset:1292
	ds_read_u16 v23, v0 offset:1122
	;; [unrolled: 1-line block ×9, first 2 shown]
	s_and_saveexec_b64 s[2:3], s[0:1]
	s_cbranch_execz .LBB0_18
; %bb.17:
	ds_read_u16 v5, v0 offset:1462
	ds_read_u16 v6, v0 offset:1836
	;; [unrolled: 1-line block ×5, first 2 shown]
	s_mov_b32 s6, 0x5040100
	s_waitcnt lgkmcnt(3)
	v_perm_b32 v6, v6, v5, s6
	s_waitcnt lgkmcnt(1)
	v_perm_b32 v5, v11, v10, s6
.LBB0_18:
	s_or_b64 exec, exec, s[2:3]
	s_and_saveexec_b64 s[2:3], vcc
	s_cbranch_execz .LBB0_21
; %bb.19:
	v_add_u32_e32 v40, 0x55, v12
	v_lshlrev_b32_e32 v10, 2, v40
	v_mov_b32_e32 v11, 0
	v_lshl_add_u64 v[32:33], v[10:11], 2, s[4:5]
	global_load_dwordx4 v[32:35], v[32:33], off offset:680
	v_lshlrev_b32_e32 v10, 2, v12
	v_lshl_add_u64 v[36:37], v[10:11], 2, s[4:5]
	global_load_dwordx4 v[36:39], v[36:37], off offset:680
	s_mov_b32 s7, 0xbb9c
	s_movk_i32 s10, 0x3b9c
	s_movk_i32 s3, 0x38b4
	s_mov_b32 s6, 0xb8b4
	s_movk_i32 s2, 0x34f2
	s_movk_i32 s11, 0x2ec
	s_waitcnt vmcnt(1)
	v_mul_f16_sdwa v0, v20, v33 dst_sel:DWORD dst_unused:UNUSED_PAD src0_sel:DWORD src1_sel:WORD_1
	v_mul_f16_sdwa v10, v21, v32 dst_sel:DWORD dst_unused:UNUSED_PAD src0_sel:DWORD src1_sel:WORD_1
	v_mul_f16_sdwa v41, v19, v34 dst_sel:DWORD dst_unused:UNUSED_PAD src0_sel:DWORD src1_sel:WORD_1
	v_mul_f16_sdwa v42, v22, v35 dst_sel:DWORD dst_unused:UNUSED_PAD src0_sel:DWORD src1_sel:WORD_1
	s_waitcnt lgkmcnt(4)
	v_mul_f16_sdwa v43, v30, v32 dst_sel:DWORD dst_unused:UNUSED_PAD src0_sel:DWORD src1_sel:WORD_1
	s_waitcnt lgkmcnt(0)
	v_mul_f16_sdwa v44, v31, v35 dst_sel:DWORD dst_unused:UNUSED_PAD src0_sel:DWORD src1_sel:WORD_1
	v_mul_f16_sdwa v45, v29, v33 dst_sel:DWORD dst_unused:UNUSED_PAD src0_sel:DWORD src1_sel:WORD_1
	;; [unrolled: 1-line block ×3, first 2 shown]
	v_fma_f16 v0, v29, v33, v0
	v_fma_f16 v10, v30, v32, v10
	;; [unrolled: 1-line block ×4, first 2 shown]
	v_fma_f16 v21, v21, v32, -v43
	v_fma_f16 v22, v22, v35, -v44
	;; [unrolled: 1-line block ×4, first 2 shown]
	v_sub_f16_e32 v32, v0, v10
	v_sub_f16_e32 v33, v28, v29
	v_sub_f16_e32 v34, v21, v22
	v_add_f16_e32 v35, v10, v29
	v_sub_f16_e32 v42, v20, v21
	v_sub_f16_e32 v43, v19, v22
	v_add_f16_e32 v44, v21, v22
	v_sub_f16_e32 v46, v10, v29
	v_sub_f16_e32 v47, v10, v0
	v_add_f16_e32 v49, v0, v28
	v_sub_f16_e32 v50, v21, v20
	v_add_f16_e32 v10, v27, v10
	v_add_f16_e32 v21, v18, v21
	v_sub_f16_e32 v41, v20, v19
	v_sub_f16_e32 v45, v0, v28
	;; [unrolled: 1-line block ×3, first 2 shown]
	v_add_f16_e32 v32, v32, v33
	v_fma_f16 v33, v35, -0.5, v27
	v_add_f16_e32 v35, v42, v43
	v_fma_f16 v42, v44, -0.5, v18
	v_fma_f16 v27, v49, -0.5, v27
	v_add_f16_e32 v0, v0, v10
	v_add_f16_e32 v10, v20, v21
	v_sub_f16_e32 v51, v22, v19
	v_add_f16_e32 v52, v20, v19
	v_add_f16_e32 v43, v47, v48
	v_fma_f16 v21, v41, s7, v33
	v_fma_f16 v47, v45, s10, v42
	;; [unrolled: 1-line block ×5, first 2 shown]
	v_add_f16_e32 v0, v28, v0
	v_add_f16_e32 v10, v10, v19
	v_fma_f16 v19, v34, s10, v27
	v_fma_f16 v18, v52, -0.5, v18
	v_fma_f16 v21, v34, s3, v21
	v_fma_f16 v27, v46, s6, v47
	;; [unrolled: 1-line block ×5, first 2 shown]
	v_add_f16_e32 v29, v0, v29
	v_fma_f16 v0, v41, s3, v19
	s_waitcnt vmcnt(0)
	v_mul_f16_sdwa v30, v15, v36 dst_sel:DWORD dst_unused:UNUSED_PAD src0_sel:DWORD src1_sel:WORD_1
	v_mul_f16_sdwa v31, v17, v37 dst_sel:DWORD dst_unused:UNUSED_PAD src0_sel:DWORD src1_sel:WORD_1
	v_fma_f16 v49, v46, s10, v18
	v_add_f16_e32 v10, v10, v22
	v_fma_f16 v19, v32, s2, v21
	v_fma_f16 v21, v35, s2, v27
	;; [unrolled: 1-line block ×6, first 2 shown]
	v_mul_f16_sdwa v0, v16, v39 dst_sel:DWORD dst_unused:UNUSED_PAD src0_sel:DWORD src1_sel:WORD_1
	v_mul_f16_sdwa v34, v14, v38 dst_sel:DWORD dst_unused:UNUSED_PAD src0_sel:DWORD src1_sel:WORD_1
	v_fma_f16 v30, v24, v36, v30
	v_fma_f16 v31, v26, v37, v31
	v_add_f16_e32 v44, v50, v51
	v_fma_f16 v42, v45, s3, v49
	v_fma_f16 v0, v25, v39, v0
	;; [unrolled: 1-line block ×4, first 2 shown]
	v_mul_f16_sdwa v24, v24, v36 dst_sel:DWORD dst_unused:UNUSED_PAD src0_sel:DWORD src1_sel:WORD_1
	v_sub_f16_e32 v41, v31, v30
	v_sub_f16_e32 v42, v34, v0
	v_fma_f16 v15, v15, v36, -v24
	v_mul_f16_sdwa v24, v25, v39 dst_sel:DWORD dst_unused:UNUSED_PAD src0_sel:DWORD src1_sel:WORD_1
	v_add_f16_e32 v25, v31, v34
	v_add_f16_e32 v41, v41, v42
	;; [unrolled: 1-line block ×3, first 2 shown]
	v_fma_f16 v25, v25, -0.5, v3
	v_fma_f16 v42, v42, -0.5, v3
	v_add_f16_e32 v3, v3, v30
	v_add_f16_e32 v3, v3, v31
	v_fma_f16 v18, v46, s7, v18
	v_mul_f16_sdwa v26, v26, v37 dst_sel:DWORD dst_unused:UNUSED_PAD src0_sel:DWORD src1_sel:WORD_1
	v_mul_f16_sdwa v23, v23, v38 dst_sel:DWORD dst_unused:UNUSED_PAD src0_sel:DWORD src1_sel:WORD_1
	v_add_f16_e32 v3, v3, v34
	v_sub_f16_e32 v20, v30, v31
	v_fma_f16 v18, v45, s6, v18
	v_sub_f16_e32 v35, v0, v34
	v_fma_f16 v17, v17, v37, -v26
	v_fma_f16 v14, v14, v38, -v23
	;; [unrolled: 1-line block ×3, first 2 shown]
	v_sub_f16_e32 v37, v30, v0
	v_add_f16_e32 v3, v0, v3
	v_add_f16_e32 v0, v13, v15
	v_fma_f16 v18, v44, s2, v18
	v_add_f16_e32 v20, v20, v35
	v_sub_f16_e32 v35, v15, v17
	v_sub_f16_e32 v36, v16, v14
	;; [unrolled: 1-line block ×4, first 2 shown]
	v_add_f16_e32 v0, v0, v17
	v_sub_f16_e32 v23, v17, v14
	v_sub_f16_e32 v24, v15, v16
	v_add_f16_e32 v35, v35, v36
	v_add_f16_e32 v36, v17, v14
	;; [unrolled: 1-line block ×5, first 2 shown]
	v_mad_u64_u32 v[14:15], s[12:13], s8, v12, 0
	v_fma_f16 v36, v36, -0.5, v13
	v_fma_f16 v45, v45, -0.5, v13
	v_add_f16_e32 v13, v16, v0
	v_mov_b32_e32 v0, v15
	v_mad_u64_u32 v[16:17], s[12:13], s9, v12, v[0:1]
	v_fma_f16 v43, v23, s7, v42
	v_fma_f16 v42, v23, s10, v42
	v_mov_b32_e32 v15, v16
	v_fma_f16 v26, v24, s10, v25
	v_fma_f16 v43, v24, s3, v43
	v_fma_f16 v42, v24, s6, v42
	v_fma_f16 v24, v24, s7, v25
	v_lshl_add_u64 v[14:15], v[14:15], 2, v[8:9]
	v_pack_b32_f16 v0, v13, v3
	v_add_u32_e32 v3, 0xbb, v12
	v_fma_f16 v26, v23, s3, v26
	v_fma_f16 v23, v23, s6, v24
	global_store_dword v[14:15], v0, off
	v_mad_u64_u32 v[14:15], s[12:13], s8, v3, 0
	v_fma_f16 v26, v20, s2, v26
	v_sub_f16_e32 v39, v31, v34
	v_fma_f16 v20, v20, s2, v23
	v_fma_f16 v23, v37, s10, v36
	v_mov_b32_e32 v0, v15
	v_fma_f16 v23, v39, s3, v23
	v_mad_u64_u32 v[16:17], s[12:13], s9, v3, v[0:1]
	v_fma_f16 v23, v35, s2, v23
	v_mov_b32_e32 v15, v16
	v_lshl_add_u64 v[14:15], v[14:15], 2, v[8:9]
	v_pack_b32_f16 v0, v23, v20
	v_add_u32_e32 v3, 0x176, v12
	global_store_dword v[14:15], v0, off
	v_mad_u64_u32 v[14:15], s[12:13], s8, v3, 0
	v_fma_f16 v43, v41, s2, v43
	v_fma_f16 v41, v41, s2, v42
	;; [unrolled: 1-line block ×3, first 2 shown]
	v_mov_b32_e32 v0, v15
	v_fma_f16 v42, v37, s3, v42
	v_mad_u64_u32 v[16:17], s[12:13], s9, v3, v[0:1]
	v_fma_f16 v42, v44, s2, v42
	v_mov_b32_e32 v15, v16
	v_lshl_add_u64 v[14:15], v[14:15], 2, v[8:9]
	v_pack_b32_f16 v0, v42, v41
	v_add_u32_e32 v3, 0x231, v12
	global_store_dword v[14:15], v0, off
	v_mad_u64_u32 v[14:15], s[12:13], s8, v3, 0
	v_fma_f16 v46, v39, s10, v45
	v_mov_b32_e32 v0, v15
	v_fma_f16 v46, v37, s6, v46
	v_mad_u64_u32 v[16:17], s[12:13], s9, v3, v[0:1]
	v_fma_f16 v46, v44, s2, v46
	v_mov_b32_e32 v15, v16
	v_lshl_add_u64 v[14:15], v[14:15], 2, v[8:9]
	v_pack_b32_f16 v0, v46, v43
	v_add_u32_e32 v3, 0x2ec, v12
	global_store_dword v[14:15], v0, off
	v_mad_u64_u32 v[14:15], s[12:13], s8, v3, 0
	v_fma_f16 v38, v37, s7, v36
	v_mov_b32_e32 v0, v15
	v_fma_f16 v38, v39, s6, v38
	v_mad_u64_u32 v[16:17], s[12:13], s9, v3, v[0:1]
	v_fma_f16 v38, v35, s2, v38
	v_mov_b32_e32 v15, v16
	v_lshl_add_u64 v[14:15], v[14:15], 2, v[8:9]
	v_pack_b32_f16 v0, v38, v26
	s_mov_b32 s12, 0xaf3addc7
	global_store_dword v[14:15], v0, off
	v_mul_hi_u32 v0, v40, s12
	v_lshrrev_b32_e32 v0, 7, v0
	v_mad_u32_u24 v3, v0, s11, v40
	v_mad_u64_u32 v[14:15], s[12:13], s8, v3, 0
	v_mov_b32_e32 v0, v15
	v_mad_u64_u32 v[16:17], s[12:13], s9, v3, v[0:1]
	v_mov_b32_e32 v15, v16
	v_lshl_add_u64 v[14:15], v[14:15], 2, v[8:9]
	v_pack_b32_f16 v0, v10, v29
	v_add_u32_e32 v10, 0xbb, v3
	global_store_dword v[14:15], v0, off
	v_mad_u64_u32 v[14:15], s[12:13], s8, v10, 0
	v_mov_b32_e32 v0, v15
	v_mad_u64_u32 v[16:17], s[12:13], s9, v10, v[0:1]
	v_mov_b32_e32 v15, v16
	v_lshl_add_u64 v[14:15], v[14:15], 2, v[8:9]
	v_pack_b32_f16 v0, v32, v28
	v_add_u32_e32 v10, 0x176, v3
	global_store_dword v[14:15], v0, off
	;; [unrolled: 8-line block ×4, first 2 shown]
	v_mad_u64_u32 v[14:15], s[12:13], s8, v3, 0
	v_mov_b32_e32 v0, v15
	v_mad_u64_u32 v[16:17], s[12:13], s9, v3, v[0:1]
	v_mov_b32_e32 v15, v16
	v_lshl_add_u64 v[14:15], v[14:15], 2, v[8:9]
	v_pack_b32_f16 v0, v18, v33
	global_store_dword v[14:15], v0, off
	s_and_b64 exec, exec, s[0:1]
	s_cbranch_execz .LBB0_21
; %bb.20:
	v_add_u32_e32 v3, 0xaa, v12
	v_subrev_u32_e32 v0, 17, v12
	v_cndmask_b32_e64 v0, v0, v3, s[0:1]
	v_lshlrev_b32_e32 v10, 2, v0
	v_lshl_add_u64 v[10:11], v[10:11], 2, s[4:5]
	global_load_dwordx4 v[14:17], v[10:11], off offset:680
	v_mad_u64_u32 v[10:11], s[0:1], s8, v3, 0
	v_mov_b32_e32 v0, v11
	v_lshrrev_b32_e32 v13, 16, v1
	v_lshrrev_b32_e32 v20, 16, v5
	;; [unrolled: 1-line block ×4, first 2 shown]
	v_mad_u64_u32 v[18:19], s[0:1], s9, v3, v[0:1]
	v_mov_b32_e32 v11, v18
	v_add_u32_e32 v23, 0x165, v12
	v_lshl_add_u64 v[10:11], v[10:11], 2, v[8:9]
	s_waitcnt vmcnt(0)
	v_mul_f16_sdwa v0, v5, v14 dst_sel:DWORD dst_unused:UNUSED_PAD src0_sel:DWORD src1_sel:WORD_1
	v_mul_f16_sdwa v3, v1, v14 dst_sel:DWORD dst_unused:UNUSED_PAD src0_sel:DWORD src1_sel:WORD_1
	;; [unrolled: 1-line block ×8, first 2 shown]
	v_fma_f16 v0, v1, v14, -v0
	v_fma_f16 v1, v5, v14, v3
	v_fma_f16 v3, v13, v15, -v18
	v_fma_f16 v5, v20, v15, v19
	;; [unrolled: 2-line block ×4, first 2 shown]
	v_add_f16_e32 v15, v4, v0
	v_add_f16_e32 v16, v3, v2
	v_sub_f16_e32 v19, v0, v3
	v_sub_f16_e32 v20, v13, v2
	v_add_f16_e32 v21, v0, v13
	v_add_f16_e32 v25, v7, v1
	v_add_f16_e32 v26, v5, v6
	v_add_f16_e32 v30, v1, v14
	v_sub_f16_e32 v17, v1, v14
	v_sub_f16_e32 v18, v5, v6
	;; [unrolled: 1-line block ×7, first 2 shown]
	v_add_f16_e32 v3, v15, v3
	v_fma_f16 v15, v16, -0.5, v4
	v_add_f16_e32 v16, v19, v20
	v_fma_f16 v4, v21, -0.5, v4
	;; [unrolled: 2-line block ×3, first 2 shown]
	v_fma_f16 v7, v30, -0.5, v7
	v_sub_f16_e32 v0, v0, v13
	v_sub_f16_e32 v31, v6, v14
	v_add_f16_e32 v19, v22, v24
	v_add_f16_e32 v2, v3, v2
	v_fma_f16 v3, v17, s10, v15
	v_fma_f16 v15, v17, s7, v15
	;; [unrolled: 1-line block ×4, first 2 shown]
	v_add_f16_e32 v5, v5, v6
	v_fma_f16 v24, v27, s10, v7
	v_fma_f16 v7, v27, s7, v7
	v_sub_f16_e32 v29, v14, v6
	v_add_f16_e32 v1, v1, v31
	v_fma_f16 v6, v0, s7, v20
	v_fma_f16 v20, v0, s10, v20
	v_add_f16_e32 v2, v2, v13
	v_fma_f16 v3, v18, s3, v3
	v_fma_f16 v13, v18, s6, v15
	;; [unrolled: 1-line block ×4, first 2 shown]
	v_add_f16_e32 v5, v5, v14
	v_fma_f16 v17, v0, s6, v24
	v_fma_f16 v0, v0, s3, v7
	;; [unrolled: 1-line block ×6, first 2 shown]
	v_pack_b32_f16 v0, v2, v5
	global_store_dword v[10:11], v0, off
	v_mad_u64_u32 v[0:1], s[0:1], s8, v23, 0
	v_mov_b32_e32 v2, v1
	v_add_f16_e32 v21, v28, v29
	v_fma_f16 v6, v27, s6, v6
	v_mad_u64_u32 v[2:3], s[0:1], s9, v23, v[2:3]
	v_fma_f16 v6, v21, s2, v6
	v_mov_b32_e32 v1, v2
	v_lshl_add_u64 v[0:1], v[0:1], 2, v[8:9]
	v_pack_b32_f16 v2, v7, v6
	v_or_b32_e32 v3, 0x220, v12
	global_store_dword v[0:1], v2, off
	v_mad_u64_u32 v[0:1], s[0:1], s8, v3, 0
	v_mov_b32_e32 v2, v1
	v_mad_u64_u32 v[2:3], s[0:1], s9, v3, v[2:3]
	v_fma_f16 v15, v19, s2, v15
	v_mov_b32_e32 v1, v2
	v_lshl_add_u64 v[0:1], v[0:1], 2, v[8:9]
	v_pack_b32_f16 v2, v15, v16
	v_add_u32_e32 v3, 0x2db, v12
	global_store_dword v[0:1], v2, off
	v_mad_u64_u32 v[0:1], s[0:1], s8, v3, 0
	v_mov_b32_e32 v2, v1
	v_mad_u64_u32 v[2:3], s[0:1], s9, v3, v[2:3]
	v_fma_f16 v4, v19, s2, v4
	v_mov_b32_e32 v1, v2
	v_lshl_add_u64 v[0:1], v[0:1], 2, v[8:9]
	v_pack_b32_f16 v2, v4, v17
	v_add_u32_e32 v3, 0x396, v12
	global_store_dword v[0:1], v2, off
	v_mad_u64_u32 v[0:1], s[0:1], s8, v3, 0
	v_mov_b32_e32 v2, v1
	v_fma_f16 v14, v27, s3, v20
	v_mad_u64_u32 v[2:3], s[0:1], s9, v3, v[2:3]
	v_fma_f16 v14, v21, s2, v14
	v_mov_b32_e32 v1, v2
	v_lshl_add_u64 v[0:1], v[0:1], 2, v[8:9]
	v_pack_b32_f16 v2, v13, v14
	global_store_dword v[0:1], v2, off
.LBB0_21:
	s_endpgm
	.section	.rodata,"a",@progbits
	.p2align	6, 0x0
	.amdhsa_kernel fft_rtc_fwd_len935_factors_17_11_5_wgs_255_tpt_85_halfLds_half_ip_CI_sbrr_dirReg
		.amdhsa_group_segment_fixed_size 0
		.amdhsa_private_segment_fixed_size 0
		.amdhsa_kernarg_size 88
		.amdhsa_user_sgpr_count 2
		.amdhsa_user_sgpr_dispatch_ptr 0
		.amdhsa_user_sgpr_queue_ptr 0
		.amdhsa_user_sgpr_kernarg_segment_ptr 1
		.amdhsa_user_sgpr_dispatch_id 0
		.amdhsa_user_sgpr_kernarg_preload_length 0
		.amdhsa_user_sgpr_kernarg_preload_offset 0
		.amdhsa_user_sgpr_private_segment_size 0
		.amdhsa_uses_dynamic_stack 0
		.amdhsa_enable_private_segment 0
		.amdhsa_system_sgpr_workgroup_id_x 1
		.amdhsa_system_sgpr_workgroup_id_y 0
		.amdhsa_system_sgpr_workgroup_id_z 0
		.amdhsa_system_sgpr_workgroup_info 0
		.amdhsa_system_vgpr_workitem_id 0
		.amdhsa_next_free_vgpr 91
		.amdhsa_next_free_sgpr 58
		.amdhsa_accum_offset 92
		.amdhsa_reserve_vcc 1
		.amdhsa_float_round_mode_32 0
		.amdhsa_float_round_mode_16_64 0
		.amdhsa_float_denorm_mode_32 3
		.amdhsa_float_denorm_mode_16_64 3
		.amdhsa_dx10_clamp 1
		.amdhsa_ieee_mode 1
		.amdhsa_fp16_overflow 0
		.amdhsa_tg_split 0
		.amdhsa_exception_fp_ieee_invalid_op 0
		.amdhsa_exception_fp_denorm_src 0
		.amdhsa_exception_fp_ieee_div_zero 0
		.amdhsa_exception_fp_ieee_overflow 0
		.amdhsa_exception_fp_ieee_underflow 0
		.amdhsa_exception_fp_ieee_inexact 0
		.amdhsa_exception_int_div_zero 0
	.end_amdhsa_kernel
	.text
.Lfunc_end0:
	.size	fft_rtc_fwd_len935_factors_17_11_5_wgs_255_tpt_85_halfLds_half_ip_CI_sbrr_dirReg, .Lfunc_end0-fft_rtc_fwd_len935_factors_17_11_5_wgs_255_tpt_85_halfLds_half_ip_CI_sbrr_dirReg
                                        ; -- End function
	.section	.AMDGPU.csdata,"",@progbits
; Kernel info:
; codeLenInByte = 12140
; NumSgprs: 64
; NumVgprs: 91
; NumAgprs: 0
; TotalNumVgprs: 91
; ScratchSize: 0
; MemoryBound: 0
; FloatMode: 240
; IeeeMode: 1
; LDSByteSize: 0 bytes/workgroup (compile time only)
; SGPRBlocks: 7
; VGPRBlocks: 11
; NumSGPRsForWavesPerEU: 64
; NumVGPRsForWavesPerEU: 91
; AccumOffset: 92
; Occupancy: 5
; WaveLimiterHint : 1
; COMPUTE_PGM_RSRC2:SCRATCH_EN: 0
; COMPUTE_PGM_RSRC2:USER_SGPR: 2
; COMPUTE_PGM_RSRC2:TRAP_HANDLER: 0
; COMPUTE_PGM_RSRC2:TGID_X_EN: 1
; COMPUTE_PGM_RSRC2:TGID_Y_EN: 0
; COMPUTE_PGM_RSRC2:TGID_Z_EN: 0
; COMPUTE_PGM_RSRC2:TIDIG_COMP_CNT: 0
; COMPUTE_PGM_RSRC3_GFX90A:ACCUM_OFFSET: 22
; COMPUTE_PGM_RSRC3_GFX90A:TG_SPLIT: 0
	.text
	.p2alignl 6, 3212836864
	.fill 256, 4, 3212836864
	.type	__hip_cuid_7075c68fa879ca64,@object ; @__hip_cuid_7075c68fa879ca64
	.section	.bss,"aw",@nobits
	.globl	__hip_cuid_7075c68fa879ca64
__hip_cuid_7075c68fa879ca64:
	.byte	0                               ; 0x0
	.size	__hip_cuid_7075c68fa879ca64, 1

	.ident	"AMD clang version 19.0.0git (https://github.com/RadeonOpenCompute/llvm-project roc-6.4.0 25133 c7fe45cf4b819c5991fe208aaa96edf142730f1d)"
	.section	".note.GNU-stack","",@progbits
	.addrsig
	.addrsig_sym __hip_cuid_7075c68fa879ca64
	.amdgpu_metadata
---
amdhsa.kernels:
  - .agpr_count:     0
    .args:
      - .actual_access:  read_only
        .address_space:  global
        .offset:         0
        .size:           8
        .value_kind:     global_buffer
      - .offset:         8
        .size:           8
        .value_kind:     by_value
      - .actual_access:  read_only
        .address_space:  global
        .offset:         16
        .size:           8
        .value_kind:     global_buffer
      - .actual_access:  read_only
        .address_space:  global
        .offset:         24
        .size:           8
        .value_kind:     global_buffer
      - .offset:         32
        .size:           8
        .value_kind:     by_value
      - .actual_access:  read_only
        .address_space:  global
        .offset:         40
        .size:           8
        .value_kind:     global_buffer
      - .actual_access:  read_only
        .address_space:  global
        .offset:         48
        .size:           8
        .value_kind:     global_buffer
      - .offset:         56
        .size:           4
        .value_kind:     by_value
      - .actual_access:  read_only
        .address_space:  global
        .offset:         64
        .size:           8
        .value_kind:     global_buffer
      - .actual_access:  read_only
        .address_space:  global
        .offset:         72
        .size:           8
        .value_kind:     global_buffer
      - .address_space:  global
        .offset:         80
        .size:           8
        .value_kind:     global_buffer
    .group_segment_fixed_size: 0
    .kernarg_segment_align: 8
    .kernarg_segment_size: 88
    .language:       OpenCL C
    .language_version:
      - 2
      - 0
    .max_flat_workgroup_size: 255
    .name:           fft_rtc_fwd_len935_factors_17_11_5_wgs_255_tpt_85_halfLds_half_ip_CI_sbrr_dirReg
    .private_segment_fixed_size: 0
    .sgpr_count:     64
    .sgpr_spill_count: 0
    .symbol:         fft_rtc_fwd_len935_factors_17_11_5_wgs_255_tpt_85_halfLds_half_ip_CI_sbrr_dirReg.kd
    .uniform_work_group_size: 1
    .uses_dynamic_stack: false
    .vgpr_count:     91
    .vgpr_spill_count: 0
    .wavefront_size: 64
amdhsa.target:   amdgcn-amd-amdhsa--gfx950
amdhsa.version:
  - 1
  - 2
...

	.end_amdgpu_metadata
